;; amdgpu-corpus repo=ROCm/rocFFT kind=compiled arch=gfx906 opt=O3
	.text
	.amdgcn_target "amdgcn-amd-amdhsa--gfx906"
	.amdhsa_code_object_version 6
	.protected	fft_rtc_fwd_len2028_factors_13_4_3_13_wgs_156_tpt_156_half_op_CI_CI_unitstride_sbrr_R2C_dirReg ; -- Begin function fft_rtc_fwd_len2028_factors_13_4_3_13_wgs_156_tpt_156_half_op_CI_CI_unitstride_sbrr_R2C_dirReg
	.globl	fft_rtc_fwd_len2028_factors_13_4_3_13_wgs_156_tpt_156_half_op_CI_CI_unitstride_sbrr_R2C_dirReg
	.p2align	8
	.type	fft_rtc_fwd_len2028_factors_13_4_3_13_wgs_156_tpt_156_half_op_CI_CI_unitstride_sbrr_R2C_dirReg,@function
fft_rtc_fwd_len2028_factors_13_4_3_13_wgs_156_tpt_156_half_op_CI_CI_unitstride_sbrr_R2C_dirReg: ; @fft_rtc_fwd_len2028_factors_13_4_3_13_wgs_156_tpt_156_half_op_CI_CI_unitstride_sbrr_R2C_dirReg
; %bb.0:
	s_load_dwordx4 s[8:11], s[4:5], 0x58
	s_load_dwordx4 s[12:15], s[4:5], 0x0
	;; [unrolled: 1-line block ×3, first 2 shown]
	v_mul_u32_u24_e32 v1, 0x1a5, v0
	v_mov_b32_e32 v3, 0
	v_mov_b32_e32 v11, 0
	s_waitcnt lgkmcnt(0)
	v_cmp_lt_u64_e64 s[0:1], s[14:15], 2
	v_add_u32_sdwa v7, s6, v1 dst_sel:DWORD dst_unused:UNUSED_PAD src0_sel:DWORD src1_sel:WORD_1
	v_mov_b32_e32 v8, v3
	s_and_b64 vcc, exec, s[0:1]
	v_mov_b32_e32 v12, 0
	s_cbranch_vccnz .LBB0_8
; %bb.1:
	s_load_dwordx2 s[0:1], s[4:5], 0x10
	s_add_u32 s2, s18, 8
	s_addc_u32 s3, s19, 0
	s_add_u32 s6, s16, 8
	s_addc_u32 s7, s17, 0
	v_mov_b32_e32 v11, 0
	s_waitcnt lgkmcnt(0)
	s_add_u32 s20, s0, 8
	v_mov_b32_e32 v12, 0
	v_mov_b32_e32 v1, v11
	s_addc_u32 s21, s1, 0
	s_mov_b64 s[22:23], 1
	v_mov_b32_e32 v2, v12
.LBB0_2:                                ; =>This Inner Loop Header: Depth=1
	s_load_dwordx2 s[24:25], s[20:21], 0x0
                                        ; implicit-def: $vgpr5_vgpr6
	s_waitcnt lgkmcnt(0)
	v_or_b32_e32 v4, s25, v8
	v_cmp_ne_u64_e32 vcc, 0, v[3:4]
	s_and_saveexec_b64 s[0:1], vcc
	s_xor_b64 s[26:27], exec, s[0:1]
	s_cbranch_execz .LBB0_4
; %bb.3:                                ;   in Loop: Header=BB0_2 Depth=1
	v_cvt_f32_u32_e32 v4, s24
	v_cvt_f32_u32_e32 v5, s25
	s_sub_u32 s0, 0, s24
	s_subb_u32 s1, 0, s25
	v_mac_f32_e32 v4, 0x4f800000, v5
	v_rcp_f32_e32 v4, v4
	v_mul_f32_e32 v4, 0x5f7ffffc, v4
	v_mul_f32_e32 v5, 0x2f800000, v4
	v_trunc_f32_e32 v5, v5
	v_mac_f32_e32 v4, 0xcf800000, v5
	v_cvt_u32_f32_e32 v5, v5
	v_cvt_u32_f32_e32 v4, v4
	v_mul_lo_u32 v6, s0, v5
	v_mul_hi_u32 v9, s0, v4
	v_mul_lo_u32 v13, s1, v4
	v_mul_lo_u32 v10, s0, v4
	v_add_u32_e32 v6, v9, v6
	v_add_u32_e32 v6, v6, v13
	v_mul_hi_u32 v9, v4, v10
	v_mul_lo_u32 v13, v4, v6
	v_mul_hi_u32 v15, v4, v6
	v_mul_hi_u32 v14, v5, v10
	v_mul_lo_u32 v10, v5, v10
	v_mul_hi_u32 v16, v5, v6
	v_add_co_u32_e32 v9, vcc, v9, v13
	v_addc_co_u32_e32 v13, vcc, 0, v15, vcc
	v_mul_lo_u32 v6, v5, v6
	v_add_co_u32_e32 v9, vcc, v9, v10
	v_addc_co_u32_e32 v9, vcc, v13, v14, vcc
	v_addc_co_u32_e32 v10, vcc, 0, v16, vcc
	v_add_co_u32_e32 v6, vcc, v9, v6
	v_addc_co_u32_e32 v9, vcc, 0, v10, vcc
	v_add_co_u32_e32 v4, vcc, v4, v6
	v_addc_co_u32_e32 v5, vcc, v5, v9, vcc
	v_mul_lo_u32 v6, s0, v5
	v_mul_hi_u32 v9, s0, v4
	v_mul_lo_u32 v10, s1, v4
	v_mul_lo_u32 v13, s0, v4
	v_add_u32_e32 v6, v9, v6
	v_add_u32_e32 v6, v6, v10
	v_mul_lo_u32 v14, v4, v6
	v_mul_hi_u32 v15, v4, v13
	v_mul_hi_u32 v16, v4, v6
	v_mul_hi_u32 v10, v5, v13
	v_mul_lo_u32 v13, v5, v13
	v_mul_hi_u32 v9, v5, v6
	v_add_co_u32_e32 v14, vcc, v15, v14
	v_addc_co_u32_e32 v15, vcc, 0, v16, vcc
	v_mul_lo_u32 v6, v5, v6
	v_add_co_u32_e32 v13, vcc, v14, v13
	v_addc_co_u32_e32 v10, vcc, v15, v10, vcc
	v_addc_co_u32_e32 v9, vcc, 0, v9, vcc
	v_add_co_u32_e32 v6, vcc, v10, v6
	v_addc_co_u32_e32 v9, vcc, 0, v9, vcc
	v_add_co_u32_e32 v6, vcc, v4, v6
	v_addc_co_u32_e32 v9, vcc, v5, v9, vcc
	v_mad_u64_u32 v[4:5], s[0:1], v7, v9, 0
	v_mul_hi_u32 v10, v7, v6
	v_add_co_u32_e32 v13, vcc, v10, v4
	v_addc_co_u32_e32 v14, vcc, 0, v5, vcc
	v_mad_u64_u32 v[4:5], s[0:1], v8, v6, 0
	v_mad_u64_u32 v[9:10], s[0:1], v8, v9, 0
	v_add_co_u32_e32 v4, vcc, v13, v4
	v_addc_co_u32_e32 v4, vcc, v14, v5, vcc
	v_addc_co_u32_e32 v5, vcc, 0, v10, vcc
	v_add_co_u32_e32 v9, vcc, v4, v9
	v_addc_co_u32_e32 v6, vcc, 0, v5, vcc
	v_mul_lo_u32 v10, s25, v9
	v_mul_lo_u32 v13, s24, v6
	v_mad_u64_u32 v[4:5], s[0:1], s24, v9, 0
	v_add3_u32 v5, v5, v13, v10
	v_sub_u32_e32 v10, v8, v5
	v_mov_b32_e32 v13, s25
	v_sub_co_u32_e32 v4, vcc, v7, v4
	v_subb_co_u32_e64 v10, s[0:1], v10, v13, vcc
	v_subrev_co_u32_e64 v13, s[0:1], s24, v4
	v_subbrev_co_u32_e64 v10, s[0:1], 0, v10, s[0:1]
	v_cmp_le_u32_e64 s[0:1], s25, v10
	v_cndmask_b32_e64 v14, 0, -1, s[0:1]
	v_cmp_le_u32_e64 s[0:1], s24, v13
	v_cndmask_b32_e64 v13, 0, -1, s[0:1]
	v_cmp_eq_u32_e64 s[0:1], s25, v10
	v_cndmask_b32_e64 v10, v14, v13, s[0:1]
	v_add_co_u32_e64 v13, s[0:1], 2, v9
	v_addc_co_u32_e64 v14, s[0:1], 0, v6, s[0:1]
	v_add_co_u32_e64 v15, s[0:1], 1, v9
	v_addc_co_u32_e64 v16, s[0:1], 0, v6, s[0:1]
	v_subb_co_u32_e32 v5, vcc, v8, v5, vcc
	v_cmp_ne_u32_e64 s[0:1], 0, v10
	v_cmp_le_u32_e32 vcc, s25, v5
	v_cndmask_b32_e64 v10, v16, v14, s[0:1]
	v_cndmask_b32_e64 v14, 0, -1, vcc
	v_cmp_le_u32_e32 vcc, s24, v4
	v_cndmask_b32_e64 v4, 0, -1, vcc
	v_cmp_eq_u32_e32 vcc, s25, v5
	v_cndmask_b32_e32 v4, v14, v4, vcc
	v_cmp_ne_u32_e32 vcc, 0, v4
	v_cndmask_b32_e64 v4, v15, v13, s[0:1]
	v_cndmask_b32_e32 v6, v6, v10, vcc
	v_cndmask_b32_e32 v5, v9, v4, vcc
.LBB0_4:                                ;   in Loop: Header=BB0_2 Depth=1
	s_andn2_saveexec_b64 s[0:1], s[26:27]
	s_cbranch_execz .LBB0_6
; %bb.5:                                ;   in Loop: Header=BB0_2 Depth=1
	v_cvt_f32_u32_e32 v4, s24
	s_sub_i32 s26, 0, s24
	v_rcp_iflag_f32_e32 v4, v4
	v_mul_f32_e32 v4, 0x4f7ffffe, v4
	v_cvt_u32_f32_e32 v4, v4
	v_mul_lo_u32 v5, s26, v4
	v_mul_hi_u32 v5, v4, v5
	v_add_u32_e32 v4, v4, v5
	v_mul_hi_u32 v4, v7, v4
	v_mul_lo_u32 v5, v4, s24
	v_add_u32_e32 v6, 1, v4
	v_sub_u32_e32 v5, v7, v5
	v_subrev_u32_e32 v9, s24, v5
	v_cmp_le_u32_e32 vcc, s24, v5
	v_cndmask_b32_e32 v5, v5, v9, vcc
	v_cndmask_b32_e32 v4, v4, v6, vcc
	v_add_u32_e32 v6, 1, v4
	v_cmp_le_u32_e32 vcc, s24, v5
	v_cndmask_b32_e32 v5, v4, v6, vcc
	v_mov_b32_e32 v6, v3
.LBB0_6:                                ;   in Loop: Header=BB0_2 Depth=1
	s_or_b64 exec, exec, s[0:1]
	v_mul_lo_u32 v4, v6, s24
	v_mul_lo_u32 v13, v5, s25
	v_mad_u64_u32 v[9:10], s[0:1], v5, s24, 0
	s_load_dwordx2 s[0:1], s[6:7], 0x0
	s_load_dwordx2 s[24:25], s[2:3], 0x0
	v_add3_u32 v4, v10, v13, v4
	v_sub_co_u32_e32 v7, vcc, v7, v9
	v_subb_co_u32_e32 v4, vcc, v8, v4, vcc
	s_waitcnt lgkmcnt(0)
	v_mul_lo_u32 v8, s0, v4
	v_mul_lo_u32 v9, s1, v7
	v_mad_u64_u32 v[11:12], s[0:1], s0, v7, v[11:12]
	s_add_u32 s22, s22, 1
	s_addc_u32 s23, s23, 0
	s_add_u32 s2, s2, 8
	v_mul_lo_u32 v4, s24, v4
	v_mul_lo_u32 v10, s25, v7
	v_mad_u64_u32 v[1:2], s[0:1], s24, v7, v[1:2]
	v_add3_u32 v12, v9, v12, v8
	s_addc_u32 s3, s3, 0
	v_mov_b32_e32 v7, s14
	s_add_u32 s6, s6, 8
	v_mov_b32_e32 v8, s15
	s_addc_u32 s7, s7, 0
	v_cmp_ge_u64_e32 vcc, s[22:23], v[7:8]
	s_add_u32 s20, s20, 8
	v_add3_u32 v2, v10, v2, v4
	s_addc_u32 s21, s21, 0
	s_cbranch_vccnz .LBB0_9
; %bb.7:                                ;   in Loop: Header=BB0_2 Depth=1
	v_mov_b32_e32 v8, v6
	v_mov_b32_e32 v7, v5
	s_branch .LBB0_2
.LBB0_8:
	v_mov_b32_e32 v1, v11
	v_mov_b32_e32 v5, v7
	;; [unrolled: 1-line block ×4, first 2 shown]
.LBB0_9:
	s_load_dwordx2 s[0:1], s[4:5], 0x28
	s_lshl_b64 s[6:7], s[14:15], 3
	s_add_u32 s2, s18, s6
	s_addc_u32 s3, s19, s7
                                        ; implicit-def: $vgpr3
                                        ; implicit-def: $vgpr7
                                        ; implicit-def: $vgpr10
                                        ; implicit-def: $vgpr9
	s_waitcnt lgkmcnt(0)
	v_cmp_gt_u64_e32 vcc, s[0:1], v[5:6]
	v_cmp_le_u64_e64 s[0:1], s[0:1], v[5:6]
	s_and_saveexec_b64 s[4:5], s[0:1]
	s_xor_b64 s[0:1], exec, s[4:5]
; %bb.10:
	s_mov_b32 s4, 0x1a41a42
	v_mul_hi_u32 v3, v0, s4
                                        ; implicit-def: $vgpr11_vgpr12
	v_mul_u32_u24_e32 v3, 0x9c, v3
	v_sub_u32_e32 v3, v0, v3
	v_add_u32_e32 v7, 0x9c, v3
	v_add_u32_e32 v10, 0x138, v3
	;; [unrolled: 1-line block ×3, first 2 shown]
                                        ; implicit-def: $vgpr0
; %bb.11:
	s_andn2_saveexec_b64 s[4:5], s[0:1]
	s_cbranch_execz .LBB0_13
; %bb.12:
	s_add_u32 s0, s16, s6
	s_addc_u32 s1, s17, s7
	s_load_dwordx2 s[0:1], s[0:1], 0x0
	s_mov_b32 s6, 0x1a41a42
	v_mul_hi_u32 v3, v0, s6
	s_waitcnt lgkmcnt(0)
	v_mul_lo_u32 v4, s1, v5
	v_mul_lo_u32 v9, s0, v6
	v_mad_u64_u32 v[7:8], s[0:1], s0, v5, 0
	v_mul_u32_u24_e32 v3, 0x9c, v3
	v_sub_u32_e32 v3, v0, v3
	v_add3_u32 v8, v8, v9, v4
	v_lshlrev_b64 v[7:8], 2, v[7:8]
	v_mov_b32_e32 v0, s9
	v_add_co_u32_e64 v4, s[0:1], s8, v7
	v_addc_co_u32_e64 v0, s[0:1], v0, v8, s[0:1]
	v_lshlrev_b64 v[7:8], 2, v[11:12]
	v_lshlrev_b32_e32 v11, 2, v3
	v_add_co_u32_e64 v4, s[0:1], v4, v7
	v_addc_co_u32_e64 v0, s[0:1], v0, v8, s[0:1]
	v_add_co_u32_e64 v7, s[0:1], v4, v11
	v_addc_co_u32_e64 v8, s[0:1], 0, v0, s[0:1]
	s_movk_i32 s0, 0x1000
	v_add_co_u32_e64 v9, s[0:1], s0, v7
	v_addc_co_u32_e64 v10, s[0:1], 0, v8, s[0:1]
	global_load_dword v0, v[7:8], off offset:1872
	global_load_dword v4, v[7:8], off offset:2496
	;; [unrolled: 1-line block ×5, first 2 shown]
	global_load_dword v15, v[7:8], off
	global_load_dword v16, v[7:8], off offset:1248
	global_load_dword v17, v[7:8], off offset:624
	;; [unrolled: 1-line block ×7, first 2 shown]
	v_add_u32_e32 v8, 0, v11
	v_add_u32_e32 v7, 0x9c, v3
	;; [unrolled: 1-line block ×9, first 2 shown]
	s_waitcnt vmcnt(6)
	ds_write2_b32 v11, v16, v0 offset0:56 offset1:212
	ds_write2_b32 v23, v4, v12 offset0:48 offset1:204
	;; [unrolled: 1-line block ×3, first 2 shown]
	s_waitcnt vmcnt(5)
	ds_write2_b32 v8, v15, v17 offset1:156
	s_waitcnt vmcnt(3)
	ds_write2_b32 v25, v18, v19 offset0:96 offset1:252
	s_waitcnt vmcnt(1)
	ds_write2_b32 v26, v20, v21 offset0:24 offset1:180
	s_waitcnt vmcnt(0)
	ds_write_b32 v8, v22 offset:7488
.LBB0_13:
	s_or_b64 exec, exec, s[4:5]
	v_lshl_add_u32 v0, v3, 2, 0
	v_add_u32_e32 v4, 0x400, v0
	s_load_dwordx2 s[2:3], s[2:3], 0x0
	s_waitcnt lgkmcnt(0)
	s_barrier
	ds_read2_b32 v[20:21], v4 offset0:56 offset1:212
	v_add_u32_e32 v4, 0x900, v0
	ds_read2_b32 v[28:29], v4 offset0:48 offset1:204
	v_add_u32_e32 v4, 0xe00, v0
	;; [unrolled: 2-line block ×3, first 2 shown]
	ds_read2_b32 v[11:12], v0 offset1:156
	ds_read2_b32 v[30:31], v4 offset0:96 offset1:252
	v_add_u32_e32 v15, 0x1800, v0
	ds_read2_b32 v[24:25], v15 offset0:24 offset1:180
	ds_read_b32 v17, v0 offset:7488
	s_mov_b32 s0, 0xb770
	s_waitcnt lgkmcnt(3)
	v_pk_add_f16 v15, v11, v12
	v_pk_add_f16 v15, v15, v20
	;; [unrolled: 1-line block ×7, first 2 shown]
	s_waitcnt lgkmcnt(2)
	v_pk_add_f16 v15, v15, v30
	v_pk_add_f16 v15, v15, v31
	s_waitcnt lgkmcnt(1)
	v_pk_add_f16 v15, v15, v24
	v_pk_add_f16 v15, v15, v25
	;; [unrolled: 3-line block ×3, first 2 shown]
	v_pk_add_f16 v12, v12, v17 neg_lo:[0,1] neg_hi:[0,1]
	v_mul_f16_sdwa v17, v12, s0 dst_sel:DWORD dst_unused:UNUSED_PAD src0_sel:WORD_1 src1_sel:DWORD
	s_movk_i32 s1, 0x3b15
	v_fma_f16 v18, v15, s1, -v17
	v_fma_f16 v17, v15, s1, v17
	s_mov_b32 s0, 0x3b15388b
	v_add_f16_e32 v22, v11, v17
	v_pk_mul_f16 v17, v15, s0
	s_mov_b32 s0, 0xba95b770
	v_pk_fma_f16 v23, v12, s0, v17 op_sel:[0,0,1] op_sel_hi:[1,1,0] neg_lo:[1,0,0] neg_hi:[1,0,0]
	v_pk_fma_f16 v17, v12, s0, v17 op_sel:[0,0,1] op_sel_hi:[1,1,0]
	s_mov_b32 s0, 0xffff
	v_add_f16_e32 v19, v11, v18
	v_bfi_b32 v18, s0, v17, v23
	v_pk_add_f16 v26, v11, v18 op_sel:[1,0] op_sel_hi:[0,1]
	v_lshrrev_b32_e32 v18, 16, v15
	v_mul_f16_e32 v27, 0xba95, v12
	s_movk_i32 s5, 0x388b
	v_pk_add_f16 v33, v11, v17 op_sel:[1,0] op_sel_hi:[0,1]
	v_fma_f16 v17, v18, s5, -v27
	s_mov_b32 s19, 0xbbf1
	v_fma_f16 v32, v18, s5, v27
	v_add_f16_sdwa v27, v11, v17 dst_sel:DWORD dst_unused:UNUSED_PAD src0_sel:WORD_1 src1_sel:DWORD
	v_mul_f16_sdwa v17, v12, s19 dst_sel:DWORD dst_unused:UNUSED_PAD src0_sel:WORD_1 src1_sel:DWORD
	s_movk_i32 s4, 0x2fb7
	v_fma_f16 v34, v15, s4, -v17
	v_mul_f16_e32 v35, 0xbbf1, v12
	v_fma_f16 v17, v15, s4, v17
	v_add_f16_e32 v37, v11, v17
	v_fma_f16 v17, v18, s4, -v35
	s_mov_b32 s6, 0xbb7b
	v_fma_f16 v36, v18, s4, v35
	v_add_f16_sdwa v35, v11, v17 dst_sel:DWORD dst_unused:UNUSED_PAD src0_sel:WORD_1 src1_sel:DWORD
	v_mul_f16_sdwa v17, v12, s6 dst_sel:DWORD dst_unused:UNUSED_PAD src0_sel:WORD_1 src1_sel:DWORD
	s_mov_b32 s7, 0xb5ac
	v_fma_f16 v38, v15, s7, -v17
	v_mul_f16_e32 v39, 0xbb7b, v12
	v_fma_f16 v17, v15, s7, v17
	v_add_f16_e32 v41, v11, v17
	v_fma_f16 v17, v18, s7, -v39
	s_mov_b32 s8, 0xb94e
	v_fma_f16 v40, v18, s7, v39
	v_add_f16_sdwa v39, v11, v17 dst_sel:DWORD dst_unused:UNUSED_PAD src0_sel:WORD_1 src1_sel:DWORD
	v_mul_f16_sdwa v17, v12, s8 dst_sel:DWORD dst_unused:UNUSED_PAD src0_sel:WORD_1 src1_sel:DWORD
	s_mov_b32 s9, 0xb9fd
	v_fma_f16 v42, v15, s9, -v17
	v_mul_f16_e32 v43, 0xb94e, v12
	v_fma_f16 v17, v15, s9, v17
	v_add_f16_e32 v45, v11, v17
	v_fma_f16 v17, v18, s9, -v43
	s_mov_b32 s18, 0xba95
	v_fma_f16 v44, v18, s9, v43
	v_add_f16_sdwa v43, v11, v17 dst_sel:DWORD dst_unused:UNUSED_PAD src0_sel:WORD_1 src1_sel:DWORD
	v_pk_add_f16 v17, v20, v25 neg_lo:[0,1] neg_hi:[0,1]
	v_pk_add_f16 v18, v25, v20
	v_mul_f16_sdwa v20, v17, s18 dst_sel:DWORD dst_unused:UNUSED_PAD src0_sel:WORD_1 src1_sel:DWORD
	v_fma_f16 v25, v18, s5, -v20
	v_add_f16_e32 v46, v25, v19
	v_fma_f16 v19, v18, s5, v20
	s_mov_b32 s14, 0x388bb5ac
	v_add_f16_e32 v22, v19, v22
	v_pk_mul_f16 v19, v18, s14
	s_mov_b32 s14, 0xbb7bba95
	v_pk_fma_f16 v25, v17, s14, v19 op_sel:[0,0,1] op_sel_hi:[1,1,0] neg_lo:[1,0,0] neg_hi:[1,0,0]
	v_pk_fma_f16 v19, v17, s14, v19 op_sel:[0,0,1] op_sel_hi:[1,1,0]
	v_bfi_b32 v20, s0, v19, v25
	v_pk_add_f16 v26, v20, v26
	v_lshrrev_b32_e32 v20, 16, v18
	v_mul_f16_e32 v47, 0xbb7b, v17
	v_pk_add_f16 v33, v19, v33
	v_fma_f16 v19, v20, s7, -v47
	s_mov_b32 s15, 0xb3a8
	v_add_f16_e32 v27, v19, v27
	v_mul_f16_sdwa v19, v17, s15 dst_sel:DWORD dst_unused:UNUSED_PAD src0_sel:WORD_1 src1_sel:DWORD
	s_mov_b32 s16, 0xbbc4
	v_add_f16_e32 v34, v11, v34
	v_fma_f16 v48, v20, s7, v47
	v_fma_f16 v47, v18, s16, -v19
	v_add_f16_e32 v34, v47, v34
	v_mul_f16_e32 v47, 0xb3a8, v17
	v_fma_f16 v19, v18, s16, v19
	v_add_f16_e32 v37, v19, v37
	v_fma_f16 v19, v20, s16, -v47
	s_movk_i32 s14, 0x394e
	v_add_f16_sdwa v32, v11, v32 dst_sel:DWORD dst_unused:UNUSED_PAD src0_sel:WORD_1 src1_sel:DWORD
	v_add_f16_e32 v35, v19, v35
	v_mul_f16_sdwa v19, v17, s14 dst_sel:DWORD dst_unused:UNUSED_PAD src0_sel:WORD_1 src1_sel:DWORD
	v_add_f16_e32 v38, v11, v38
	v_add_f16_e32 v32, v48, v32
	v_fma_f16 v48, v20, s16, v47
	v_fma_f16 v47, v18, s9, -v19
	v_add_f16_e32 v38, v47, v38
	v_mul_f16_e32 v47, 0x394e, v17
	v_fma_f16 v19, v18, s9, v19
	v_add_f16_e32 v41, v19, v41
	v_fma_f16 v19, v20, s9, -v47
	s_movk_i32 s14, 0x3bf1
	v_add_f16_sdwa v36, v11, v36 dst_sel:DWORD dst_unused:UNUSED_PAD src0_sel:WORD_1 src1_sel:DWORD
	v_add_f16_e32 v39, v19, v39
	v_mul_f16_sdwa v19, v17, s14 dst_sel:DWORD dst_unused:UNUSED_PAD src0_sel:WORD_1 src1_sel:DWORD
	v_add_f16_e32 v42, v11, v42
	v_add_f16_e32 v36, v48, v36
	v_fma_f16 v48, v20, s9, v47
	v_fma_f16 v47, v18, s4, -v19
	v_add_f16_e32 v42, v47, v42
	v_mul_f16_e32 v47, 0x3bf1, v17
	v_fma_f16 v19, v18, s4, v19
	v_add_f16_e32 v45, v19, v45
	v_fma_f16 v19, v20, s4, -v47
	v_add_f16_sdwa v40, v11, v40 dst_sel:DWORD dst_unused:UNUSED_PAD src0_sel:WORD_1 src1_sel:DWORD
	v_add_f16_e32 v43, v19, v43
	v_pk_add_f16 v19, v21, v24 neg_lo:[0,1] neg_hi:[0,1]
	v_add_f16_e32 v40, v48, v40
	v_fma_f16 v48, v20, s4, v47
	v_pk_add_f16 v20, v24, v21
	v_mul_f16_sdwa v21, v19, s19 dst_sel:DWORD dst_unused:UNUSED_PAD src0_sel:WORD_1 src1_sel:DWORD
	v_fma_f16 v24, v20, s4, -v21
	v_fma_f16 v21, v20, s4, v21
	s_mov_b32 s17, 0x2fb7bbc4
	v_add_f16_e32 v21, v21, v22
	v_pk_mul_f16 v22, v20, s17
	s_mov_b32 s17, 0xb3a8bbf1
	v_add_f16_e32 v24, v24, v46
	v_pk_fma_f16 v46, v19, s17, v22 op_sel:[0,0,1] op_sel_hi:[1,1,0] neg_lo:[1,0,0] neg_hi:[1,0,0]
	v_pk_fma_f16 v22, v19, s17, v22 op_sel:[0,0,1] op_sel_hi:[1,1,0]
	v_add_f16_sdwa v44, v11, v44 dst_sel:DWORD dst_unused:UNUSED_PAD src0_sel:WORD_1 src1_sel:DWORD
	v_bfi_b32 v47, s0, v22, v46
	v_add_f16_e32 v44, v48, v44
	v_pk_add_f16 v47, v47, v26
	v_lshrrev_b32_e32 v26, 16, v20
	v_mul_f16_e32 v48, 0xb3a8, v19
	v_pk_add_f16 v22, v22, v33
	v_fma_f16 v33, v26, s16, -v48
	s_movk_i32 s17, 0x3b7b
	v_add_f16_e32 v33, v33, v27
	v_mul_f16_sdwa v27, v19, s17 dst_sel:DWORD dst_unused:UNUSED_PAD src0_sel:WORD_1 src1_sel:DWORD
	v_fma_f16 v49, v26, s16, v48
	v_fma_f16 v48, v20, s7, -v27
	v_add_f16_e32 v34, v48, v34
	v_mul_f16_e32 v48, 0x3b7b, v19
	v_fma_f16 v27, v20, s7, v27
	v_add_f16_e32 v37, v27, v37
	v_fma_f16 v27, v26, s7, -v48
	s_movk_i32 s17, 0x3770
	v_add_f16_e32 v35, v27, v35
	v_mul_f16_sdwa v27, v19, s17 dst_sel:DWORD dst_unused:UNUSED_PAD src0_sel:WORD_1 src1_sel:DWORD
	v_add_f16_e32 v32, v49, v32
	v_fma_f16 v49, v26, s7, v48
	v_fma_f16 v48, v20, s1, -v27
	v_add_f16_e32 v38, v48, v38
	v_mul_f16_e32 v48, 0x3770, v19
	v_fma_f16 v27, v20, s1, v27
	v_add_f16_e32 v41, v27, v41
	v_fma_f16 v27, v26, s1, -v48
	v_add_f16_e32 v39, v27, v39
	v_mul_f16_sdwa v27, v19, s18 dst_sel:DWORD dst_unused:UNUSED_PAD src0_sel:WORD_1 src1_sel:DWORD
	v_add_f16_e32 v36, v49, v36
	v_fma_f16 v49, v26, s1, v48
	v_fma_f16 v48, v20, s5, -v27
	v_add_f16_e32 v42, v48, v42
	v_mul_f16_e32 v48, 0xba95, v19
	v_add_f16_e32 v40, v49, v40
	v_fma_f16 v49, v26, s5, v48
	v_fma_f16 v26, v26, s5, -v48
	v_fma_f16 v27, v20, s5, v27
	v_add_f16_e32 v43, v26, v43
	v_pk_add_f16 v26, v28, v31 neg_lo:[0,1] neg_hi:[0,1]
	v_add_f16_e32 v45, v27, v45
	v_pk_add_f16 v27, v31, v28
	v_mul_f16_sdwa v28, v26, s6 dst_sel:DWORD dst_unused:UNUSED_PAD src0_sel:WORD_1 src1_sel:DWORD
	v_fma_f16 v31, v27, s7, -v28
	v_add_f16_e32 v31, v31, v24
	v_fma_f16 v24, v27, s7, v28
	s_mov_b32 s20, 0xb5acb9fd
	v_add_f16_e32 v28, v24, v21
	v_pk_mul_f16 v21, v27, s20
	s_mov_b32 s20, 0x394ebb7b
	v_pk_fma_f16 v48, v26, s20, v21 op_sel:[0,0,1] op_sel_hi:[1,1,0] neg_lo:[1,0,0] neg_hi:[1,0,0]
	v_pk_fma_f16 v21, v26, s20, v21 op_sel:[0,0,1] op_sel_hi:[1,1,0]
	v_bfi_b32 v24, s0, v21, v48
	v_add_f16_e32 v44, v49, v44
	v_pk_add_f16 v47, v24, v47
	v_lshrrev_b32_e32 v49, 16, v27
	v_mul_f16_e32 v24, 0x394e, v26
	v_fma_f16 v50, v49, s9, v24
	v_pk_add_f16 v21, v21, v22
	v_fma_f16 v22, v49, s9, -v24
	v_mul_f16_sdwa v24, v26, s17 dst_sel:DWORD dst_unused:UNUSED_PAD src0_sel:WORD_1 src1_sel:DWORD
	v_add_f16_e32 v22, v22, v33
	v_fma_f16 v33, v27, s1, -v24
	v_add_f16_e32 v33, v33, v34
	v_mul_f16_e32 v34, 0x3770, v26
	v_fma_f16 v24, v27, s1, v24
	v_add_f16_e32 v32, v50, v32
	v_fma_f16 v50, v49, s1, v34
	v_add_f16_e32 v37, v24, v37
	v_fma_f16 v24, v49, s1, -v34
	v_mul_f16_sdwa v34, v26, s19 dst_sel:DWORD dst_unused:UNUSED_PAD src0_sel:WORD_1 src1_sel:DWORD
	v_add_f16_e32 v24, v24, v35
	v_fma_f16 v35, v27, s4, -v34
	v_add_f16_e32 v35, v35, v38
	v_mul_f16_e32 v38, 0xbbf1, v26
	v_add_f16_e32 v36, v50, v36
	v_fma_f16 v50, v49, s4, v38
	v_fma_f16 v38, v49, s4, -v38
	s_movk_i32 s19, 0x33a8
	v_fma_f16 v34, v27, s4, v34
	v_add_f16_e32 v38, v38, v39
	v_mul_f16_sdwa v39, v26, s19 dst_sel:DWORD dst_unused:UNUSED_PAD src0_sel:WORD_1 src1_sel:DWORD
	v_add_f16_e32 v34, v34, v41
	v_fma_f16 v41, v27, s16, -v39
	v_add_f16_e32 v41, v41, v42
	v_mul_f16_e32 v42, 0x33a8, v26
	v_add_f16_e32 v40, v50, v40
	v_fma_f16 v50, v49, s16, v42
	v_fma_f16 v42, v49, s16, -v42
	v_add_f16_e32 v42, v42, v43
	v_pk_add_f16 v43, v30, v29
	v_pk_add_f16 v29, v29, v30 neg_lo:[0,1] neg_hi:[0,1]
	v_fma_f16 v39, v27, s16, v39
	v_mul_f16_sdwa v30, v29, s8 dst_sel:DWORD dst_unused:UNUSED_PAD src0_sel:WORD_1 src1_sel:DWORD
	v_add_f16_e32 v39, v39, v45
	v_fma_f16 v45, v43, s9, -v30
	v_fma_f16 v30, v43, s9, v30
	s_mov_b32 s20, 0xb9fd2fb7
	v_add_f16_e32 v28, v30, v28
	v_pk_mul_f16 v30, v43, s20
	s_mov_b32 s20, 0x3bf1b94e
	v_add_f16_e32 v31, v45, v31
	v_pk_fma_f16 v45, v29, s20, v30 op_sel:[0,0,1] op_sel_hi:[1,1,0] neg_lo:[1,0,0] neg_hi:[1,0,0]
	v_pk_fma_f16 v30, v29, s20, v30 op_sel:[0,0,1] op_sel_hi:[1,1,0]
	v_bfi_b32 v49, s0, v30, v45
	v_add_f16_e32 v44, v50, v44
	v_pk_add_f16 v47, v49, v47
	v_lshrrev_b32_e32 v49, 16, v43
	v_mul_f16_e32 v50, 0x3bf1, v29
	v_fma_f16 v51, v49, s4, v50
	v_fma_f16 v50, v49, s4, -v50
	v_add_f16_e32 v50, v50, v22
	v_mul_f16_sdwa v22, v29, s18 dst_sel:DWORD dst_unused:UNUSED_PAD src0_sel:WORD_1 src1_sel:DWORD
	v_add_f16_e32 v32, v51, v32
	v_fma_f16 v51, v43, s5, -v22
	v_add_f16_e32 v33, v51, v33
	v_mul_f16_e32 v51, 0xba95, v29
	v_fma_f16 v22, v43, s5, v22
	v_fma_f16 v52, v49, s5, v51
	v_add_f16_e32 v37, v22, v37
	v_mul_f16_sdwa v22, v29, s19 dst_sel:DWORD dst_unused:UNUSED_PAD src0_sel:WORD_1 src1_sel:DWORD
	v_add_f16_e32 v36, v52, v36
	v_fma_f16 v52, v43, s16, -v22
	v_add_f16_e32 v35, v52, v35
	v_mul_f16_e32 v52, 0x33a8, v29
	v_fma_f16 v22, v43, s16, v22
	v_add_f16_e32 v34, v22, v34
	v_fma_f16 v22, v49, s16, -v52
	v_add_f16_e32 v38, v22, v38
	v_mul_f16_sdwa v22, v29, s17 dst_sel:DWORD dst_unused:UNUSED_PAD src0_sel:WORD_1 src1_sel:DWORD
	v_fma_f16 v53, v49, s16, v52
	v_fma_f16 v52, v43, s1, -v22
	v_add_f16_e32 v41, v52, v41
	v_mul_f16_e32 v52, 0x3770, v29
	v_fma_f16 v22, v43, s1, v22
	v_fma_f16 v51, v49, s5, -v51
	v_add_f16_e32 v40, v53, v40
	v_fma_f16 v53, v49, s1, v52
	v_add_f16_e32 v39, v22, v39
	v_fma_f16 v22, v49, s1, -v52
	v_pk_add_f16 v49, v14, v13
	v_pk_add_f16 v13, v13, v14 neg_lo:[0,1] neg_hi:[0,1]
	v_mul_f16_sdwa v14, v13, s15 dst_sel:DWORD dst_unused:UNUSED_PAD src0_sel:WORD_1 src1_sel:DWORD
	v_add_f16_sdwa v23, v11, v23 dst_sel:DWORD dst_unused:UNUSED_PAD src0_sel:WORD_1 src1_sel:DWORD
	v_add_f16_e32 v42, v22, v42
	v_fma_f16 v22, v49, s16, -v14
	v_fma_f16 v14, v49, s16, v14
	s_mov_b32 s18, 0xbbc43b15
	v_add_f16_e32 v23, v25, v23
	v_add_f16_e32 v31, v22, v31
	;; [unrolled: 1-line block ×3, first 2 shown]
	v_pk_mul_f16 v14, v49, s18
	s_mov_b32 s18, 0x3770b3a8
	v_add_f16_e32 v23, v46, v23
	v_pk_fma_f16 v52, v13, s18, v14 op_sel:[0,0,1] op_sel_hi:[1,1,0] neg_lo:[1,0,0] neg_hi:[1,0,0]
	v_add_f16_e32 v23, v48, v23
	v_pk_fma_f16 v25, v13, s18, v14 op_sel:[0,0,1] op_sel_hi:[1,1,0]
	v_add_f16_e32 v23, v45, v23
	v_bfi_b32 v25, s0, v25, v52
	v_lshrrev_b32_e32 v45, 16, v49
	v_mul_f16_e32 v46, 0x3770, v13
	v_pk_add_f16 v25, v25, v47
	v_fma_f16 v47, v45, s1, v46
	v_add_f16_e32 v32, v47, v32
	v_mul_f16_sdwa v47, v13, s8 dst_sel:DWORD dst_unused:UNUSED_PAD src0_sel:WORD_1 src1_sel:DWORD
	v_fma_f16 v48, v49, s9, -v47
	v_pk_mul_f16 v28, v13, s18
	v_add_f16_e32 v33, v48, v33
	v_mul_f16_e32 v48, 0xb9fd, v45
	v_fma_f16 v47, v49, s9, v47
	s_movk_i32 s18, 0x3a95
	v_add_f16_e32 v23, v52, v23
	v_fma_f16 v52, v13, s8, v48
	v_add_f16_e32 v37, v47, v37
	v_mul_f16_sdwa v47, v13, s18 dst_sel:DWORD dst_unused:UNUSED_PAD src0_sel:WORD_1 src1_sel:DWORD
	v_add_f16_e32 v36, v52, v36
	v_fma_f16 v52, v49, s5, -v47
	v_add_f16_e32 v35, v52, v35
	v_mul_f16_e32 v52, 0x3a95, v13
	v_fma_f16 v47, v49, s5, v47
	v_add_f16_e32 v34, v47, v34
	v_fma_f16 v47, v45, s5, -v52
	v_add_f16_e32 v38, v47, v38
	v_mul_f16_sdwa v47, v13, s6 dst_sel:DWORD dst_unused:UNUSED_PAD src0_sel:WORD_1 src1_sel:DWORD
	v_add_f16_e32 v44, v53, v44
	v_fma_f16 v53, v45, s5, v52
	v_fma_f16 v52, v49, s7, -v47
	v_add_f16_e32 v41, v52, v41
	v_mul_f16_e32 v52, 0xbb7b, v13
	v_mad_u32_u24 v8, v3, 48, v0
	v_add_f16_e32 v40, v53, v40
	v_fma_f16 v53, v45, s7, v52
	v_alignbit_b32 v32, v32, v25, 16
	v_pack_b32_f16 v25, v31, v25
	v_add_f16_e32 v44, v53, v44
	s_barrier
	ds_write2_b32 v8, v25, v32 offset0:1 offset1:2
	v_pack_b32_f16 v25, v35, v40
	v_pack_b32_f16 v31, v33, v36
	ds_write2_b32 v8, v31, v25 offset0:3 offset1:4
	v_pack_b32_f16 v25, v41, v44
	v_pk_mul_f16 v15, v15, s16 op_sel_hi:[1,0]
	ds_write2_b32 v8, v16, v25 offset1:5
	v_pk_fma_f16 v16, v12, s15, v15 op_sel:[0,0,1] op_sel_hi:[1,0,0] neg_lo:[1,0,0] neg_hi:[1,0,0]
	v_pk_fma_f16 v12, v12, s15, v15 op_sel:[0,0,1] op_sel_hi:[1,0,0]
	v_pk_add_f16 v16, v11, v16 op_sel:[1,0] op_sel_hi:[0,1]
	v_pk_add_f16 v11, v11, v12 op_sel:[1,0] op_sel_hi:[0,1]
	v_pk_mul_f16 v12, v18, s1 op_sel_hi:[1,0]
	v_pk_fma_f16 v15, v17, s17, v12 op_sel:[0,0,1] op_sel_hi:[1,0,0] neg_lo:[1,0,0] neg_hi:[1,0,0]
	v_pk_fma_f16 v12, v17, s17, v12 op_sel:[0,0,1] op_sel_hi:[1,0,0]
	v_pk_add_f16 v11, v12, v11
	v_pk_mul_f16 v12, v20, s9 op_sel_hi:[1,0]
	v_pk_add_f16 v15, v15, v16
	v_pk_fma_f16 v16, v19, s8, v12 op_sel:[0,0,1] op_sel_hi:[1,0,0] neg_lo:[1,0,0] neg_hi:[1,0,0]
	v_pk_fma_f16 v12, v19, s8, v12 op_sel:[0,0,1] op_sel_hi:[1,0,0]
	v_pk_add_f16 v11, v12, v11
	v_pk_mul_f16 v12, v27, s5 op_sel_hi:[1,0]
	v_pk_add_f16 v15, v16, v15
	;; [unrolled: 5-line block ×4, first 2 shown]
	v_pk_fma_f16 v16, v13, s14, v12 op_sel:[0,0,1] op_sel_hi:[1,0,0] neg_lo:[1,0,0] neg_hi:[1,0,0]
	v_pk_fma_f16 v12, v13, s14, v12 op_sel:[0,0,1] op_sel_hi:[1,0,0]
	v_fma_f16 v46, v45, s1, -v46
	v_fma_f16 v47, v49, s7, v47
	v_fma_f16 v45, v45, s7, -v52
	v_pk_add_f16 v15, v16, v15
	v_pk_add_f16 v11, v12, v11
	v_add_f16_e32 v39, v47, v39
	v_add_f16_e32 v42, v45, v42
	v_alignbit_b32 v12, v15, v11, 16
	v_alignbit_b32 v11, v11, v15, 16
	ds_write2_b32 v8, v11, v12 offset0:6 offset1:7
	v_pack_b32_f16 v11, v34, v38
	v_pack_b32_f16 v12, v39, v42
	v_add_f16_e32 v46, v46, v50
	v_mul_f16_e32 v50, 0xb94e, v13
	ds_write2_b32 v8, v12, v11 offset0:8 offset1:9
	v_pack_b32_f16 v11, v51, v14
	v_bfi_b32 v12, s0, v24, v28
	v_pk_add_f16 v11, v11, v12
	v_bfi_b32 v12, s0, v50, v21
	v_pk_add_f16 v12, v48, v12 neg_lo:[0,1] neg_hi:[0,1]
	v_pk_add_f16 v13, v30, v21
	v_bfi_b32 v12, s0, v12, v13
	v_pk_add_f16 v11, v12, v11
	v_alignbit_b32 v12, v46, v11, 16
	v_pack_b32_f16 v11, v37, v11
	ds_write2_b32 v8, v11, v12 offset0:10 offset1:11
	v_pack_b32_f16 v11, v22, v23
	ds_write_b32 v8, v11 offset:48
	v_add_u32_e32 v11, 0x700, v0
	s_waitcnt lgkmcnt(0)
	s_barrier
	ds_read2_b32 v[15:16], v11 offset0:59 offset1:215
	v_add_u32_e32 v11, 0xc00, v0
	v_add_u32_e32 v13, 0x1700, v0
	v_lshl_add_u32 v20, v10, 2, 0
	ds_read_b32 v8, v0
	ds_read2_b32 v[11:12], v11 offset0:51 offset1:246
	ds_read2_b32 v[17:18], v13 offset0:49 offset1:205
	v_lshl_add_u32 v21, v7, 2, 0
	ds_read2_b32 v[13:14], v4 offset0:18 offset1:174
	ds_read_b32 v4, v20
	ds_read_b32 v24, v21
	ds_read_b32 v31, v0 offset:7332
	v_cmp_gt_u32_e64 s[0:1], 39, v3
	v_lshl_add_u32 v19, v9, 2, 0
                                        ; implicit-def: $vgpr30
                                        ; implicit-def: $vgpr29
                                        ; implicit-def: $vgpr28
                                        ; implicit-def: $vgpr27
                                        ; implicit-def: $vgpr26
                                        ; implicit-def: $vgpr25
	s_and_saveexec_b64 s[4:5], s[0:1]
	s_cbranch_execz .LBB0_15
; %bb.14:
	ds_read_b32 v22, v19
	ds_read_b32 v29, v0 offset:3900
	ds_read_b32 v27, v0 offset:5928
	;; [unrolled: 1-line block ×3, first 2 shown]
	s_waitcnt lgkmcnt(3)
	v_lshrrev_b32_e32 v23, 16, v22
	s_waitcnt lgkmcnt(2)
	v_lshrrev_b32_e32 v30, 16, v29
	s_waitcnt lgkmcnt(1)
	v_lshrrev_b32_e32 v28, 16, v27
	s_waitcnt lgkmcnt(0)
	v_lshrrev_b32_e32 v26, 16, v25
.LBB0_15:
	s_or_b64 exec, exec, s[4:5]
	s_movk_i32 s4, 0x4f
	v_mul_lo_u16_sdwa v32, v3, s4 dst_sel:DWORD dst_unused:UNUSED_PAD src0_sel:BYTE_0 src1_sel:DWORD
	v_lshrrev_b16_e32 v47, 10, v32
	v_mul_lo_u16_e32 v32, 13, v47
	v_sub_u16_e32 v48, v3, v32
	v_mov_b32_e32 v32, 3
	v_mul_u32_u24_sdwa v32, v48, v32 dst_sel:DWORD dst_unused:UNUSED_PAD src0_sel:BYTE_0 src1_sel:DWORD
	v_lshlrev_b32_e32 v32, 2, v32
	global_load_dwordx3 v[32:34], v32, s[12:13]
	s_waitcnt lgkmcnt(7)
	v_lshrrev_b32_e32 v39, 16, v15
	s_waitcnt lgkmcnt(5)
	v_lshrrev_b32_e32 v40, 16, v12
	;; [unrolled: 2-line block ×3, first 2 shown]
	s_movk_i32 s4, 0x4ec5
	v_lshrrev_b32_e32 v42, 16, v16
	s_waitcnt lgkmcnt(3)
	v_lshrrev_b32_e32 v43, 16, v13
	v_lshrrev_b32_e32 v44, 16, v18
	v_lshrrev_b32_e32 v45, 16, v11
	v_lshrrev_b32_e32 v46, 16, v14
	s_waitcnt lgkmcnt(0)
	v_lshrrev_b32_e32 v38, 16, v31
	v_lshrrev_b32_e32 v35, 16, v8
	;; [unrolled: 1-line block ×4, first 2 shown]
	s_waitcnt vmcnt(0)
	v_mul_f16_sdwa v49, v32, v39 dst_sel:DWORD dst_unused:UNUSED_PAD src0_sel:WORD_1 src1_sel:DWORD
	v_fma_f16 v49, v32, v15, -v49
	v_mul_f16_sdwa v15, v32, v15 dst_sel:DWORD dst_unused:UNUSED_PAD src0_sel:WORD_1 src1_sel:DWORD
	v_fma_f16 v39, v32, v39, v15
	v_mul_f16_sdwa v15, v33, v40 dst_sel:DWORD dst_unused:UNUSED_PAD src0_sel:WORD_1 src1_sel:DWORD
	v_fma_f16 v50, v33, v12, -v15
	v_mul_f16_sdwa v12, v33, v12 dst_sel:DWORD dst_unused:UNUSED_PAD src0_sel:WORD_1 src1_sel:DWORD
	v_fma_f16 v40, v33, v40, v12
	;; [unrolled: 4-line block ×3, first 2 shown]
	v_mul_u32_u24_sdwa v12, v7, s4 dst_sel:DWORD dst_unused:UNUSED_PAD src0_sel:WORD_0 src1_sel:DWORD
	v_lshrrev_b32_e32 v52, 18, v12
	v_mul_lo_u16_e32 v12, 13, v52
	v_sub_u16_e32 v53, v7, v12
	v_mul_u32_u24_e32 v12, 3, v53
	v_lshlrev_b32_e32 v12, 2, v12
	global_load_dwordx3 v[32:34], v12, s[12:13]
	s_waitcnt vmcnt(0)
	v_mul_f16_sdwa v12, v32, v42 dst_sel:DWORD dst_unused:UNUSED_PAD src0_sel:WORD_1 src1_sel:DWORD
	v_fma_f16 v54, v32, v16, -v12
	v_mul_f16_sdwa v12, v32, v16 dst_sel:DWORD dst_unused:UNUSED_PAD src0_sel:WORD_1 src1_sel:DWORD
	v_fma_f16 v32, v32, v42, v12
	v_mul_f16_sdwa v12, v33, v43 dst_sel:DWORD dst_unused:UNUSED_PAD src0_sel:WORD_1 src1_sel:DWORD
	v_fma_f16 v42, v33, v13, -v12
	v_mul_f16_sdwa v12, v33, v13 dst_sel:DWORD dst_unused:UNUSED_PAD src0_sel:WORD_1 src1_sel:DWORD
	v_fma_f16 v33, v33, v43, v12
	v_mul_f16_sdwa v12, v34, v44 dst_sel:DWORD dst_unused:UNUSED_PAD src0_sel:WORD_1 src1_sel:DWORD
	v_fma_f16 v43, v34, v18, -v12
	v_mul_f16_sdwa v12, v34, v18 dst_sel:DWORD dst_unused:UNUSED_PAD src0_sel:WORD_1 src1_sel:DWORD
	v_fma_f16 v18, v34, v44, v12
	v_mul_u32_u24_sdwa v12, v10, s4 dst_sel:DWORD dst_unused:UNUSED_PAD src0_sel:WORD_0 src1_sel:DWORD
	v_lshrrev_b32_e32 v34, 18, v12
	v_mul_lo_u16_e32 v12, 13, v34
	v_sub_u16_e32 v44, v10, v12
	v_mul_u32_u24_e32 v12, 3, v44
	v_lshlrev_b32_e32 v12, 2, v12
	global_load_dwordx3 v[15:17], v12, s[12:13]
	v_sub_f16_e32 v18, v32, v18
	v_fma_f16 v32, v32, 2.0, -v18
	s_waitcnt vmcnt(0)
	v_mul_f16_sdwa v12, v15, v45 dst_sel:DWORD dst_unused:UNUSED_PAD src0_sel:WORD_1 src1_sel:DWORD
	v_fma_f16 v55, v15, v11, -v12
	v_mul_f16_sdwa v11, v15, v11 dst_sel:DWORD dst_unused:UNUSED_PAD src0_sel:WORD_1 src1_sel:DWORD
	v_fma_f16 v45, v15, v45, v11
	v_mul_f16_sdwa v11, v16, v46 dst_sel:DWORD dst_unused:UNUSED_PAD src0_sel:WORD_1 src1_sel:DWORD
	v_fma_f16 v56, v16, v14, -v11
	v_mul_f16_sdwa v11, v16, v14 dst_sel:DWORD dst_unused:UNUSED_PAD src0_sel:WORD_1 src1_sel:DWORD
	v_fma_f16 v16, v16, v46, v11
	v_mul_f16_sdwa v11, v38, v17 dst_sel:DWORD dst_unused:UNUSED_PAD src0_sel:DWORD src1_sel:WORD_1
	v_fma_f16 v46, v31, v17, -v11
	v_mul_f16_sdwa v11, v31, v17 dst_sel:DWORD dst_unused:UNUSED_PAD src0_sel:DWORD src1_sel:WORD_1
	v_fma_f16 v17, v38, v17, v11
	v_mul_u32_u24_sdwa v11, v9, s4 dst_sel:DWORD dst_unused:UNUSED_PAD src0_sel:WORD_0 src1_sel:DWORD
	v_lshrrev_b32_e32 v11, 18, v11
	v_mul_lo_u16_e32 v12, 13, v11
	v_sub_u16_e32 v12, v9, v12
	v_mul_u32_u24_e32 v13, 3, v12
	v_lshlrev_b32_e32 v13, 2, v13
	global_load_dwordx3 v[13:15], v13, s[12:13]
	v_sub_f16_e32 v16, v37, v16
	v_sub_f16_e32 v17, v45, v17
	v_fma_f16 v45, v45, 2.0, -v17
	s_waitcnt vmcnt(0)
	s_barrier
	v_mul_f16_sdwa v31, v30, v13 dst_sel:DWORD dst_unused:UNUSED_PAD src0_sel:DWORD src1_sel:WORD_1
	v_fma_f16 v31, v29, v13, -v31
	v_mul_f16_sdwa v29, v29, v13 dst_sel:DWORD dst_unused:UNUSED_PAD src0_sel:DWORD src1_sel:WORD_1
	v_fma_f16 v13, v30, v13, v29
	v_mul_f16_sdwa v29, v28, v14 dst_sel:DWORD dst_unused:UNUSED_PAD src0_sel:DWORD src1_sel:WORD_1
	v_fma_f16 v29, v27, v14, -v29
	v_mul_f16_sdwa v27, v27, v14 dst_sel:DWORD dst_unused:UNUSED_PAD src0_sel:DWORD src1_sel:WORD_1
	v_fma_f16 v14, v28, v14, v27
	;; [unrolled: 4-line block ×3, first 2 shown]
	v_sub_f16_e32 v26, v35, v40
	v_sub_f16_e32 v25, v8, v50
	v_fma_f16 v28, v35, 2.0, -v26
	v_sub_f16_e32 v30, v49, v51
	v_sub_f16_e32 v35, v39, v41
	v_fma_f16 v8, v8, 2.0, -v25
	v_fma_f16 v38, v49, 2.0, -v30
	;; [unrolled: 1-line block ×3, first 2 shown]
	v_sub_f16_e32 v35, v25, v35
	v_sub_f16_e32 v38, v8, v38
	v_fma_f16 v41, v25, 2.0, -v35
	v_sub_f16_e32 v25, v36, v33
	v_fma_f16 v40, v8, 2.0, -v38
	;; [unrolled: 2-line block ×4, first 2 shown]
	v_fma_f16 v42, v54, 2.0, -v36
	v_sub_f16_e32 v18, v8, v18
	v_add_f16_e32 v36, v25, v36
	v_sub_f16_e32 v42, v24, v42
	v_fma_f16 v49, v8, 2.0, -v18
	v_fma_f16 v50, v25, 2.0, -v36
	v_sub_f16_e32 v8, v4, v56
	v_sub_f16_e32 v25, v55, v46
	v_fma_f16 v43, v24, 2.0, -v42
	v_fma_f16 v24, v37, 2.0, -v16
	;; [unrolled: 1-line block ×3, first 2 shown]
	v_sub_f16_e32 v17, v8, v17
	v_add_f16_e32 v54, v16, v25
	v_sub_f16_e32 v25, v22, v29
	v_sub_f16_e32 v29, v23, v14
	;; [unrolled: 1-line block ×4, first 2 shown]
	v_add_f16_e32 v30, v26, v30
	v_fma_f16 v4, v4, 2.0, -v8
	v_sub_f16_e32 v45, v24, v45
	v_fma_f16 v55, v8, 2.0, -v17
	v_fma_f16 v8, v23, 2.0, -v29
	v_sub_f16_e32 v14, v31, v27
	v_fma_f16 v13, v13, 2.0, -v15
	v_mov_b32_e32 v27, 2
	v_fma_f16 v28, v28, 2.0, -v39
	v_fma_f16 v26, v26, 2.0, -v30
	;; [unrolled: 1-line block ×3, first 2 shown]
	v_sub_f16_e32 v24, v8, v13
	v_sub_f16_e32 v13, v25, v15
	v_mul_u32_u24_e32 v15, 0xd0, v47
	v_lshlrev_b32_sdwa v27, v27, v48 dst_sel:DWORD dst_unused:UNUSED_PAD src0_sel:DWORD src1_sel:BYTE_0
	v_add3_u32 v15, 0, v15, v27
	v_pack_b32_f16 v27, v40, v28
	v_pack_b32_f16 v26, v41, v26
	v_sub_f16_e32 v32, v33, v32
	ds_write2_b32 v15, v27, v26 offset1:13
	v_pack_b32_f16 v26, v38, v39
	v_pack_b32_f16 v27, v35, v30
	v_fma_f16 v33, v33, 2.0, -v32
	ds_write2_b32 v15, v26, v27 offset0:26 offset1:39
	v_mul_u32_u24_e32 v15, 0xd0, v52
	v_lshlrev_b32_e32 v26, 2, v53
	v_add3_u32 v15, 0, v15, v26
	v_pack_b32_f16 v26, v43, v33
	v_pack_b32_f16 v27, v49, v50
	v_sub_f16_e32 v37, v4, v37
	ds_write2_b32 v15, v26, v27 offset1:13
	v_pack_b32_f16 v26, v42, v32
	v_pack_b32_f16 v18, v18, v36
	v_fma_f16 v46, v4, 2.0, -v37
	v_fma_f16 v16, v16, 2.0, -v54
	;; [unrolled: 1-line block ×4, first 2 shown]
	ds_write2_b32 v15, v26, v18 offset0:26 offset1:39
	v_mul_u32_u24_e32 v15, 0xd0, v34
	v_lshlrev_b32_e32 v18, 2, v44
	v_sub_f16_e32 v22, v4, v22
	v_add_f16_e32 v14, v29, v14
	v_add3_u32 v15, 0, v15, v18
	v_pack_b32_f16 v18, v46, v51
	v_pack_b32_f16 v16, v55, v16
	v_fma_f16 v4, v4, 2.0, -v22
	v_fma_f16 v8, v8, 2.0, -v24
	;; [unrolled: 1-line block ×4, first 2 shown]
	ds_write2_b32 v15, v18, v16 offset1:13
	v_pack_b32_f16 v16, v37, v45
	v_pack_b32_f16 v17, v17, v54
	ds_write2_b32 v15, v16, v17 offset0:26 offset1:39
	s_and_saveexec_b64 s[4:5], s[0:1]
	s_cbranch_execz .LBB0_17
; %bb.16:
	v_mul_lo_u16_e32 v11, 52, v11
	v_lshlrev_b32_e32 v12, 2, v12
	v_lshlrev_b32_e32 v11, 2, v11
	s_mov_b32 s0, 0x5040100
	v_add3_u32 v11, 0, v12, v11
	v_perm_b32 v12, v8, v4, s0
	v_perm_b32 v15, v25, v23, s0
	ds_write2_b32 v11, v12, v15 offset1:13
	v_perm_b32 v12, v24, v22, s0
	v_perm_b32 v13, v14, v13, s0
	ds_write2_b32 v11, v12, v13 offset0:26 offset1:39
.LBB0_17:
	s_or_b64 exec, exec, s[4:5]
	v_add_u32_e32 v13, 0x1400, v0
	s_waitcnt lgkmcnt(0)
	s_barrier
	v_add_u32_e32 v11, 0xa00, v0
	ds_read2_b32 v[15:16], v13 offset0:72 offset1:228
	v_add_u32_e32 v13, 0xe00, v0
	v_add_u32_e32 v17, 0x1a00, v0
	ds_read2_b32 v[11:12], v11 offset0:36 offset1:192
	ds_read2_b32 v[13:14], v13 offset0:92 offset1:248
	ds_read2_b32 v[17:18], v17 offset1:156
	ds_read_b32 v29, v0
	ds_read_b32 v28, v21
	;; [unrolled: 1-line block ×4, first 2 shown]
	v_cmp_gt_u32_e64 s[0:1], 52, v3
	s_and_saveexec_b64 s[4:5], s[0:1]
	s_cbranch_execz .LBB0_19
; %bb.18:
	ds_read_b32 v4, v0 offset:2496
	ds_read_b32 v23, v0 offset:5200
	;; [unrolled: 1-line block ×3, first 2 shown]
	s_waitcnt lgkmcnt(2)
	v_lshrrev_b32_e32 v8, 16, v4
	s_waitcnt lgkmcnt(1)
	v_lshrrev_b32_e32 v25, 16, v23
	s_waitcnt lgkmcnt(0)
	v_lshrrev_b32_e32 v24, 16, v22
.LBB0_19:
	s_or_b64 exec, exec, s[4:5]
	s_movk_i32 s4, 0x4f
	v_mul_lo_u16_sdwa v30, v3, s4 dst_sel:DWORD dst_unused:UNUSED_PAD src0_sel:BYTE_0 src1_sel:DWORD
	s_movk_i32 s6, 0x4ec5
	v_lshrrev_b16_e32 v38, 12, v30
	v_mul_u32_u24_sdwa v31, v7, s6 dst_sel:DWORD dst_unused:UNUSED_PAD src0_sel:WORD_0 src1_sel:DWORD
	v_mul_lo_u16_e32 v30, 52, v38
	v_lshrrev_b32_e32 v40, 20, v31
	v_mul_u32_u24_sdwa v33, v10, s6 dst_sel:DWORD dst_unused:UNUSED_PAD src0_sel:WORD_0 src1_sel:DWORD
	v_mul_u32_u24_sdwa v35, v9, s6 dst_sel:DWORD dst_unused:UNUSED_PAD src0_sel:WORD_0 src1_sel:DWORD
	v_sub_u16_e32 v39, v3, v30
	v_mov_b32_e32 v30, 3
	v_mul_lo_u16_e32 v31, 52, v40
	v_lshrrev_b32_e32 v42, 20, v33
	v_lshrrev_b32_e32 v44, 20, v35
	v_lshlrev_b32_sdwa v30, v30, v39 dst_sel:DWORD dst_unused:UNUSED_PAD src0_sel:DWORD src1_sel:BYTE_0
	v_sub_u16_e32 v41, v7, v31
	v_mul_lo_u16_e32 v33, 52, v42
	v_mul_lo_u16_e32 v36, 52, v44
	v_lshlrev_b32_e32 v32, 3, v41
	global_load_dwordx2 v[30:31], v30, s[12:13] offset:156
	v_sub_u16_e32 v43, v10, v33
	global_load_dwordx2 v[32:33], v32, s[12:13] offset:156
	v_sub_u16_e32 v45, v9, v36
	v_lshlrev_b32_e32 v34, 3, v43
	global_load_dwordx2 v[34:35], v34, s[12:13] offset:156
	v_lshlrev_b32_e32 v36, 3, v45
	global_load_dwordx2 v[36:37], v36, s[12:13] offset:156
	s_waitcnt lgkmcnt(6)
	v_lshrrev_b32_e32 v51, 16, v11
	v_lshrrev_b32_e32 v52, 16, v15
	;; [unrolled: 1-line block ×4, first 2 shown]
	s_waitcnt lgkmcnt(3)
	v_lshrrev_b32_e32 v46, 16, v29
	v_lshrrev_b32_e32 v50, 16, v18
	;; [unrolled: 1-line block ×4, first 2 shown]
	s_movk_i32 s7, 0x3aee
	s_mov_b32 s8, 0xbaee
	s_waitcnt lgkmcnt(2)
	v_lshrrev_b32_e32 v47, 16, v28
	v_lshrrev_b32_e32 v57, 16, v14
	s_waitcnt lgkmcnt(1)
	v_lshrrev_b32_e32 v48, 16, v27
	s_waitcnt lgkmcnt(0)
	v_lshrrev_b32_e32 v49, 16, v26
	s_waitcnt vmcnt(0)
	s_barrier
	v_mul_f16_sdwa v58, v30, v51 dst_sel:DWORD dst_unused:UNUSED_PAD src0_sel:WORD_1 src1_sel:DWORD
	v_mul_f16_sdwa v59, v30, v11 dst_sel:DWORD dst_unused:UNUSED_PAD src0_sel:WORD_1 src1_sel:DWORD
	v_mul_f16_sdwa v60, v31, v52 dst_sel:DWORD dst_unused:UNUSED_PAD src0_sel:WORD_1 src1_sel:DWORD
	v_mul_f16_sdwa v61, v31, v15 dst_sel:DWORD dst_unused:UNUSED_PAD src0_sel:WORD_1 src1_sel:DWORD
	v_mul_f16_sdwa v62, v32, v53 dst_sel:DWORD dst_unused:UNUSED_PAD src0_sel:WORD_1 src1_sel:DWORD
	v_mul_f16_sdwa v63, v32, v12 dst_sel:DWORD dst_unused:UNUSED_PAD src0_sel:WORD_1 src1_sel:DWORD
	v_mul_f16_sdwa v64, v33, v54 dst_sel:DWORD dst_unused:UNUSED_PAD src0_sel:WORD_1 src1_sel:DWORD
	v_fma_f16 v11, v30, v11, -v58
	v_fma_f16 v30, v30, v51, v59
	v_fma_f16 v15, v31, v15, -v60
	v_fma_f16 v31, v31, v52, v61
	v_mul_f16_sdwa v65, v33, v16 dst_sel:DWORD dst_unused:UNUSED_PAD src0_sel:WORD_1 src1_sel:DWORD
	v_mul_f16_sdwa v66, v34, v55 dst_sel:DWORD dst_unused:UNUSED_PAD src0_sel:WORD_1 src1_sel:DWORD
	;; [unrolled: 1-line block ×3, first 2 shown]
	v_mul_f16_sdwa v72, v50, v37 dst_sel:DWORD dst_unused:UNUSED_PAD src0_sel:DWORD src1_sel:WORD_1
	v_mul_f16_sdwa v73, v18, v37 dst_sel:DWORD dst_unused:UNUSED_PAD src0_sel:DWORD src1_sel:WORD_1
	v_fma_f16 v12, v32, v12, -v62
	v_fma_f16 v32, v32, v53, v63
	v_fma_f16 v16, v33, v16, -v64
	v_sub_f16_e32 v52, v30, v31
	v_add_f16_e32 v53, v46, v30
	v_add_f16_e32 v30, v30, v31
	v_fma_f16 v33, v33, v54, v65
	v_fma_f16 v13, v34, v13, -v66
	v_fma_f16 v34, v34, v55, v67
	v_fma_f16 v18, v18, v37, -v72
	v_fma_f16 v37, v50, v37, v73
	v_add_f16_e32 v50, v29, v11
	v_add_f16_e32 v51, v11, v15
	v_sub_f16_e32 v11, v11, v15
	v_add_f16_e32 v55, v12, v16
	v_fma_f16 v30, v30, -0.5, v46
	v_mul_f16_sdwa v68, v35, v56 dst_sel:DWORD dst_unused:UNUSED_PAD src0_sel:WORD_1 src1_sel:DWORD
	v_add_f16_e32 v54, v28, v12
	v_fma_f16 v29, v51, -0.5, v29
	v_fma_f16 v28, v55, -0.5, v28
	v_fma_f16 v51, v11, s8, v30
	v_fma_f16 v11, v11, s7, v30
	v_sub_f16_e32 v30, v32, v33
	v_mul_f16_sdwa v69, v35, v17 dst_sel:DWORD dst_unused:UNUSED_PAD src0_sel:WORD_1 src1_sel:DWORD
	v_fma_f16 v17, v35, v17, -v68
	v_add_f16_e32 v15, v50, v15
	v_fma_f16 v50, v52, s7, v29
	v_fma_f16 v29, v52, s8, v29
	;; [unrolled: 1-line block ×4, first 2 shown]
	v_add_f16_e32 v30, v47, v32
	v_add_f16_e32 v32, v32, v33
	v_fma_f16 v35, v35, v56, v69
	v_add_f16_e32 v30, v30, v33
	v_fma_f16 v32, v32, -0.5, v47
	v_sub_f16_e32 v12, v12, v16
	v_add_f16_e32 v33, v13, v17
	v_mul_f16_sdwa v70, v36, v57 dst_sel:DWORD dst_unused:UNUSED_PAD src0_sel:WORD_1 src1_sel:DWORD
	v_add_f16_e32 v46, v54, v16
	v_fma_f16 v16, v12, s8, v32
	v_fma_f16 v12, v12, s7, v32
	v_add_f16_e32 v32, v27, v13
	v_fma_f16 v27, v33, -0.5, v27
	v_sub_f16_e32 v33, v34, v35
	v_mul_f16_sdwa v71, v36, v14 dst_sel:DWORD dst_unused:UNUSED_PAD src0_sel:WORD_1 src1_sel:DWORD
	v_fma_f16 v14, v36, v14, -v70
	v_fma_f16 v47, v33, s7, v27
	v_fma_f16 v27, v33, s8, v27
	v_add_f16_e32 v33, v48, v34
	v_add_f16_e32 v34, v34, v35
	v_fma_f16 v36, v36, v57, v71
	v_add_f16_e32 v33, v33, v35
	v_fma_f16 v34, v34, -0.5, v48
	v_sub_f16_e32 v13, v13, v17
	v_add_f16_e32 v35, v14, v18
	v_add_f16_e32 v32, v32, v17
	v_fma_f16 v17, v13, s8, v34
	v_fma_f16 v13, v13, s7, v34
	v_add_f16_e32 v34, v26, v14
	v_fma_f16 v26, v35, -0.5, v26
	v_sub_f16_e32 v35, v36, v37
	v_fma_f16 v48, v35, s7, v26
	v_fma_f16 v26, v35, s8, v26
	v_add_f16_e32 v35, v49, v36
	v_add_f16_e32 v36, v36, v37
	;; [unrolled: 1-line block ×3, first 2 shown]
	v_fma_f16 v36, v36, -0.5, v49
	v_sub_f16_e32 v14, v14, v18
	v_mov_b32_e32 v37, 2
	v_add_f16_e32 v31, v53, v31
	v_add_f16_e32 v34, v34, v18
	v_fma_f16 v18, v14, s8, v36
	v_fma_f16 v14, v14, s7, v36
	v_mul_u32_u24_e32 v36, 0x270, v38
	v_lshlrev_b32_sdwa v37, v37, v39 dst_sel:DWORD dst_unused:UNUSED_PAD src0_sel:DWORD src1_sel:BYTE_0
	v_add3_u32 v36, 0, v36, v37
	v_pack_b32_f16 v15, v15, v31
	v_pack_b32_f16 v31, v50, v51
	;; [unrolled: 1-line block ×3, first 2 shown]
	ds_write2_b32 v36, v15, v31 offset1:52
	ds_write_b32 v36, v11 offset:416
	v_mul_u32_u24_e32 v11, 0x270, v40
	v_lshlrev_b32_e32 v15, 2, v41
	v_add3_u32 v11, 0, v11, v15
	v_pack_b32_f16 v15, v46, v30
	v_pack_b32_f16 v16, v52, v16
	;; [unrolled: 1-line block ×3, first 2 shown]
	ds_write2_b32 v11, v15, v16 offset1:52
	ds_write_b32 v11, v12 offset:416
	v_mul_u32_u24_e32 v11, 0x270, v42
	v_lshlrev_b32_e32 v12, 2, v43
	v_add3_u32 v11, 0, v11, v12
	v_pack_b32_f16 v12, v32, v33
	v_pack_b32_f16 v15, v47, v17
	ds_write2_b32 v11, v12, v15 offset1:52
	v_pack_b32_f16 v12, v27, v13
	ds_write_b32 v11, v12 offset:416
	v_mul_u32_u24_e32 v11, 0x270, v44
	v_lshlrev_b32_e32 v12, 2, v45
	v_add3_u32 v11, 0, v11, v12
	v_pack_b32_f16 v12, v34, v35
	v_pack_b32_f16 v13, v48, v18
	ds_write2_b32 v11, v12, v13 offset1:52
	v_pack_b32_f16 v12, v26, v14
	ds_write_b32 v11, v12 offset:416
	s_and_saveexec_b64 s[4:5], s[0:1]
	s_cbranch_execz .LBB0_21
; %bb.20:
	v_add_u32_e32 v11, 0x270, v3
	v_mul_u32_u24_sdwa v12, v11, s6 dst_sel:DWORD dst_unused:UNUSED_PAD src0_sel:WORD_0 src1_sel:DWORD
	v_lshrrev_b32_e32 v12, 20, v12
	v_mul_lo_u16_e32 v12, 52, v12
	v_sub_u16_e32 v13, v11, v12
	v_lshlrev_b32_e32 v11, 3, v13
	global_load_dwordx2 v[11:12], v11, s[12:13] offset:156
	v_lshl_add_u32 v13, v13, 2, 0
	v_add_u32_e32 v14, 0x1c00, v13
	s_waitcnt vmcnt(0)
	v_mul_f16_sdwa v15, v25, v11 dst_sel:DWORD dst_unused:UNUSED_PAD src0_sel:DWORD src1_sel:WORD_1
	v_mul_f16_sdwa v16, v24, v12 dst_sel:DWORD dst_unused:UNUSED_PAD src0_sel:DWORD src1_sel:WORD_1
	v_mul_f16_sdwa v17, v23, v11 dst_sel:DWORD dst_unused:UNUSED_PAD src0_sel:DWORD src1_sel:WORD_1
	v_mul_f16_sdwa v18, v22, v12 dst_sel:DWORD dst_unused:UNUSED_PAD src0_sel:DWORD src1_sel:WORD_1
	v_fma_f16 v15, v23, v11, -v15
	v_fma_f16 v16, v22, v12, -v16
	v_fma_f16 v11, v25, v11, v17
	v_fma_f16 v12, v24, v12, v18
	v_add_f16_e32 v18, v11, v12
	v_add_f16_e32 v22, v15, v16
	v_sub_f16_e32 v17, v15, v16
	v_sub_f16_e32 v23, v11, v12
	v_add_f16_e32 v11, v8, v11
	v_add_f16_e32 v15, v4, v15
	v_fma_f16 v8, v18, -0.5, v8
	v_fma_f16 v4, v22, -0.5, v4
	v_add_f16_e32 v11, v11, v12
	v_add_f16_e32 v12, v15, v16
	v_fma_f16 v15, v17, s7, v8
	v_fma_f16 v16, v23, s8, v4
	;; [unrolled: 1-line block ×4, first 2 shown]
	v_pack_b32_f16 v11, v12, v11
	v_pack_b32_f16 v4, v4, v8
	v_pack_b32_f16 v8, v16, v15
	ds_write2_b32 v14, v11, v4 offset0:80 offset1:132
	ds_write_b32 v13, v8 offset:7904
.LBB0_21:
	s_or_b64 exec, exec, s[4:5]
	v_mul_u32_u24_e32 v4, 12, v3
	v_lshlrev_b32_e32 v4, 2, v4
	s_waitcnt lgkmcnt(0)
	s_barrier
	global_load_dwordx4 v[13:16], v4, s[12:13] offset:572
	global_load_dwordx4 v[22:25], v4, s[12:13] offset:588
	;; [unrolled: 1-line block ×3, first 2 shown]
	ds_read_b32 v36, v19
	v_add_u32_e32 v11, 0x900, v0
	ds_read_b32 v37, v0
	ds_read_u16 v38, v0 offset:3122
	v_add_u32_e32 v12, 0xe00, v0
	v_add_u32_e32 v8, 0x1200, v0
	;; [unrolled: 1-line block ×3, first 2 shown]
	ds_read_b32 v39, v20
	ds_read_b32 v40, v21
	ds_read_b32 v41, v0 offset:7488
	ds_read2_b32 v[17:18], v11 offset0:48 offset1:204
	ds_read2_b32 v[30:31], v12 offset0:40 offset1:196
	;; [unrolled: 1-line block ×4, first 2 shown]
	s_waitcnt lgkmcnt(5)
	v_lshrrev_b32_e32 v43, 16, v40
	v_lshrrev_b32_e32 v44, 16, v39
	s_waitcnt lgkmcnt(3)
	v_lshrrev_b32_e32 v52, 16, v17
	v_lshrrev_b32_e32 v42, 16, v41
	;; [unrolled: 1-line block ×3, first 2 shown]
	s_waitcnt lgkmcnt(2)
	v_lshrrev_b32_e32 v46, 16, v30
	v_lshrrev_b32_e32 v47, 16, v31
	s_waitcnt lgkmcnt(1)
	v_lshrrev_b32_e32 v48, 16, v32
	v_lshrrev_b32_e32 v49, 16, v33
	;; [unrolled: 3-line block ×3, first 2 shown]
	s_movk_i32 s4, 0x3b15
	s_movk_i32 s1, 0x388b
	;; [unrolled: 1-line block ×3, first 2 shown]
	s_mov_b32 s5, 0xb5ac
	s_mov_b32 s6, 0xb9fd
	;; [unrolled: 1-line block ×3, first 2 shown]
	s_waitcnt vmcnt(0)
	s_barrier
	v_mul_f16_sdwa v53, v13, v43 dst_sel:DWORD dst_unused:UNUSED_PAD src0_sel:WORD_1 src1_sel:DWORD
	v_mul_f16_sdwa v54, v13, v40 dst_sel:DWORD dst_unused:UNUSED_PAD src0_sel:WORD_1 src1_sel:DWORD
	;; [unrolled: 1-line block ×5, first 2 shown]
	v_mul_f16_sdwa v61, v38, v22 dst_sel:DWORD dst_unused:UNUSED_PAD src0_sel:DWORD src1_sel:WORD_1
	v_mul_f16_sdwa v62, v22, v18 dst_sel:DWORD dst_unused:UNUSED_PAD src0_sel:WORD_1 src1_sel:DWORD
	v_fma_f16 v40, v13, v40, -v53
	v_mul_f16_sdwa v56, v14, v39 dst_sel:DWORD dst_unused:UNUSED_PAD src0_sel:WORD_1 src1_sel:DWORD
	v_mul_f16_sdwa v57, v15, v45 dst_sel:DWORD dst_unused:UNUSED_PAD src0_sel:WORD_1 src1_sel:DWORD
	v_mul_f16_sdwa v63, v46, v23 dst_sel:DWORD dst_unused:UNUSED_PAD src0_sel:DWORD src1_sel:WORD_1
	v_mul_f16_sdwa v65, v47, v24 dst_sel:DWORD dst_unused:UNUSED_PAD src0_sel:DWORD src1_sel:WORD_1
	;; [unrolled: 1-line block ×7, first 2 shown]
	v_fma_f16 v13, v13, v43, v54
	v_fma_f16 v39, v14, v39, -v55
	v_fma_f16 v43, v16, v52, v60
	v_fma_f16 v16, v16, v17, -v59
	v_fma_f16 v17, v22, v18, -v61
	v_fma_f16 v22, v38, v22, v62
	v_add_f16_e32 v38, v40, v37
	v_mul_f16_sdwa v58, v15, v36 dst_sel:DWORD dst_unused:UNUSED_PAD src0_sel:WORD_1 src1_sel:DWORD
	v_mul_f16_sdwa v64, v30, v23 dst_sel:DWORD dst_unused:UNUSED_PAD src0_sel:DWORD src1_sel:WORD_1
	v_mul_f16_sdwa v66, v31, v24 dst_sel:DWORD dst_unused:UNUSED_PAD src0_sel:DWORD src1_sel:WORD_1
	;; [unrolled: 1-line block ×7, first 2 shown]
	v_fma_f16 v14, v14, v44, v56
	v_fma_f16 v36, v15, v36, -v57
	v_fma_f16 v18, v30, v23, -v63
	;; [unrolled: 1-line block ×8, first 2 shown]
	v_add_f16_sdwa v41, v13, v37 dst_sel:DWORD dst_unused:UNUSED_PAD src0_sel:DWORD src1_sel:WORD_1
	v_add_f16_e32 v38, v38, v39
	v_fma_f16 v15, v15, v45, v58
	v_add_f16_e32 v41, v41, v14
	v_add_f16_e32 v38, v38, v36
	;; [unrolled: 1-line block ×6, first 2 shown]
	v_fma_f16 v23, v46, v23, v64
	v_add_f16_e32 v41, v41, v22
	v_add_f16_e32 v38, v38, v18
	v_fma_f16 v24, v47, v24, v66
	v_add_f16_e32 v41, v41, v23
	v_add_f16_e32 v38, v38, v30
	;; [unrolled: 3-line block ×5, first 2 shown]
	v_fma_f16 v28, v51, v28, v74
	v_fma_f16 v29, v42, v29, v76
	v_add_f16_e32 v41, v41, v27
	v_add_f16_e32 v38, v38, v34
	v_add_f16_e32 v41, v41, v28
	v_add_f16_e32 v38, v38, v35
	v_add_f16_e32 v42, v40, v35
	v_add_f16_e32 v44, v13, v29
	v_sub_f16_e32 v35, v40, v35
	v_sub_f16_e32 v13, v13, v29
	v_add_f16_e32 v41, v41, v29
	v_mul_f16_e32 v29, 0xb770, v13
	v_mul_f16_e32 v45, 0xb770, v35
	;; [unrolled: 1-line block ×12, first 2 shown]
	v_fma_f16 v40, v42, s4, -v29
	v_fma_f16 v46, v44, s4, v45
	v_fma_f16 v29, v42, s4, v29
	v_fma_f16 v45, v44, s4, -v45
	v_fma_f16 v48, v42, s1, -v47
	v_fma_f16 v50, v44, s1, v49
	v_fma_f16 v47, v42, s1, v47
	v_fma_f16 v49, v44, s1, -v49
	v_fma_f16 v52, v42, s0, -v51
	v_fma_f16 v51, v42, s0, v51
	v_fma_f16 v55, v42, s5, -v54
	v_fma_f16 v54, v42, s5, v54
	;; [unrolled: 2-line block ×4, first 2 shown]
	v_fma_f16 v42, v44, s0, v53
	v_fma_f16 v53, v44, s0, -v53
	v_fma_f16 v60, v44, s5, v59
	v_fma_f16 v59, v44, s5, -v59
	;; [unrolled: 2-line block ×4, first 2 shown]
	v_add_f16_e32 v40, v40, v37
	v_add_f16_sdwa v44, v46, v37 dst_sel:DWORD dst_unused:UNUSED_PAD src0_sel:DWORD src1_sel:WORD_1
	v_add_f16_e32 v29, v29, v37
	v_add_f16_sdwa v45, v45, v37 dst_sel:DWORD dst_unused:UNUSED_PAD src0_sel:DWORD src1_sel:WORD_1
	;; [unrolled: 2-line block ×12, first 2 shown]
	v_add_f16_e32 v37, v39, v34
	v_sub_f16_e32 v34, v39, v34
	v_add_f16_e32 v39, v14, v28
	v_sub_f16_e32 v14, v14, v28
	v_mul_f16_e32 v28, 0xba95, v14
	v_fma_f16 v63, v37, s1, -v28
	v_add_f16_e32 v40, v63, v40
	v_mul_f16_e32 v63, 0xba95, v34
	v_fma_f16 v28, v37, s1, v28
	v_add_f16_e32 v28, v28, v29
	v_fma_f16 v29, v39, s1, -v63
	v_add_f16_e32 v29, v29, v45
	v_mul_f16_e32 v45, 0xbb7b, v14
	v_fma_f16 v64, v39, s1, v63
	v_fma_f16 v63, v37, s5, -v45
	v_add_f16_e32 v46, v63, v46
	v_mul_f16_e32 v63, 0xbb7b, v34
	v_fma_f16 v45, v37, s5, v45
	v_add_f16_e32 v45, v45, v47
	v_fma_f16 v47, v39, s5, -v63
	v_add_f16_e32 v47, v47, v49
	v_mul_f16_e32 v49, 0xb3a8, v14
	v_add_f16_e32 v44, v64, v44
	v_fma_f16 v64, v39, s5, v63
	v_fma_f16 v63, v37, s7, -v49
	v_add_f16_e32 v50, v63, v50
	v_mul_f16_e32 v63, 0xb3a8, v34
	v_fma_f16 v49, v37, s7, v49
	v_add_f16_e32 v49, v49, v51
	v_fma_f16 v51, v39, s7, -v63
	v_add_f16_e32 v51, v51, v52
	v_mul_f16_e32 v52, 0x394e, v14
	v_add_f16_e32 v48, v64, v48
	;; [unrolled: 10-line block ×3, first 2 shown]
	v_fma_f16 v64, v39, s6, v63
	v_fma_f16 v63, v37, s0, -v59
	v_add_f16_e32 v57, v63, v57
	v_mul_f16_e32 v63, 0x3bf1, v34
	v_fma_f16 v59, v37, s0, v59
	v_add_f16_e32 v56, v59, v56
	v_fma_f16 v59, v39, s0, -v63
	v_mul_f16_e32 v14, 0x3770, v14
	v_add_f16_e32 v59, v59, v61
	v_fma_f16 v61, v37, s4, -v14
	v_mul_f16_e32 v34, 0x3770, v34
	v_fma_f16 v14, v37, s4, v14
	v_add_f16_e32 v13, v14, v13
	v_fma_f16 v14, v39, s4, -v34
	v_add_f16_e32 v14, v14, v35
	v_add_f16_e32 v35, v15, v27
	v_sub_f16_e32 v15, v15, v27
	v_add_f16_e32 v58, v61, v58
	v_fma_f16 v61, v39, s4, v34
	v_add_f16_e32 v34, v36, v33
	v_sub_f16_e32 v33, v36, v33
	v_mul_f16_e32 v27, 0xbbf1, v15
	v_fma_f16 v36, v34, s0, -v27
	v_mul_f16_e32 v37, 0xbbf1, v33
	v_fma_f16 v27, v34, s0, v27
	v_add_f16_e32 v55, v64, v55
	v_fma_f16 v64, v39, s0, v63
	v_add_f16_e32 v36, v36, v40
	;; [unrolled: 2-line block ×3, first 2 shown]
	v_fma_f16 v28, v35, s0, -v37
	v_mul_f16_e32 v40, 0xb3a8, v33
	v_add_f16_e32 v39, v39, v44
	v_add_f16_e32 v28, v28, v29
	v_mul_f16_e32 v29, 0xb3a8, v15
	v_fma_f16 v44, v35, s7, v40
	v_fma_f16 v40, v35, s7, -v40
	v_fma_f16 v37, v34, s7, -v29
	v_fma_f16 v29, v34, s7, v29
	v_add_f16_e32 v40, v40, v47
	v_mul_f16_e32 v47, 0x3b7b, v33
	v_add_f16_e32 v44, v44, v48
	v_add_f16_e32 v29, v29, v45
	v_mul_f16_e32 v45, 0x3b7b, v15
	v_fma_f16 v48, v35, s5, v47
	v_add_f16_e32 v37, v37, v46
	v_fma_f16 v46, v34, s5, -v45
	v_add_f16_e32 v42, v48, v42
	v_fma_f16 v45, v34, s5, v45
	v_mul_f16_e32 v48, 0x3770, v15
	v_add_f16_e32 v45, v45, v49
	v_fma_f16 v49, v34, s4, -v48
	v_fma_f16 v48, v34, s4, v48
	v_add_f16_e32 v46, v46, v50
	v_fma_f16 v47, v35, s5, -v47
	v_mul_f16_e32 v50, 0x3770, v33
	v_add_f16_e32 v48, v48, v52
	v_mul_f16_e32 v52, 0xba95, v15
	v_add_f16_e32 v47, v47, v51
	v_add_f16_e32 v49, v49, v53
	v_fma_f16 v51, v35, s4, v50
	v_fma_f16 v50, v35, s4, -v50
	v_fma_f16 v53, v34, s1, -v52
	v_fma_f16 v52, v34, s1, v52
	v_mul_f16_e32 v15, 0xb94e, v15
	v_add_f16_e32 v50, v50, v54
	v_mul_f16_e32 v54, 0xba95, v33
	v_add_f16_e32 v52, v52, v56
	v_fma_f16 v56, v34, s6, -v15
	v_mul_f16_e32 v33, 0xb94e, v33
	v_fma_f16 v15, v34, s6, v15
	v_add_f16_e32 v53, v53, v57
	v_fma_f16 v57, v35, s6, v33
	v_add_f16_e32 v13, v15, v13
	v_fma_f16 v15, v35, s6, -v33
	v_add_f16_e32 v33, v43, v26
	v_sub_f16_e32 v26, v43, v26
	v_add_f16_e32 v14, v15, v14
	v_add_f16_e32 v15, v16, v32
	v_sub_f16_e32 v16, v16, v32
	v_mul_f16_e32 v32, 0xbb7b, v26
	v_add_f16_e32 v51, v51, v55
	v_fma_f16 v55, v35, s1, v54
	v_fma_f16 v54, v35, s1, -v54
	v_fma_f16 v34, v15, s5, -v32
	v_mul_f16_e32 v35, 0xbb7b, v16
	v_fma_f16 v32, v15, s5, v32
	v_add_f16_e32 v27, v32, v27
	v_fma_f16 v32, v33, s5, -v35
	v_add_f16_e32 v28, v32, v28
	v_mul_f16_e32 v32, 0x394e, v26
	v_add_f16_e32 v34, v34, v36
	v_fma_f16 v36, v33, s5, v35
	v_fma_f16 v35, v15, s6, -v32
	v_add_f16_e32 v35, v35, v37
	v_mul_f16_e32 v37, 0x394e, v16
	v_add_f16_e32 v36, v36, v39
	v_fma_f16 v39, v33, s6, v37
	v_fma_f16 v32, v15, s6, v32
	v_mul_f16_e32 v43, 0x3770, v16
	v_add_f16_e32 v39, v39, v44
	v_add_f16_e32 v29, v32, v29
	v_fma_f16 v32, v33, s6, -v37
	v_mul_f16_e32 v37, 0x3770, v26
	v_fma_f16 v44, v33, s4, v43
	v_add_f16_e32 v32, v32, v40
	v_fma_f16 v40, v15, s4, -v37
	v_add_f16_e32 v42, v44, v42
	v_fma_f16 v37, v15, s4, v37
	v_mul_f16_e32 v44, 0xbbf1, v26
	v_add_f16_e32 v37, v37, v45
	v_fma_f16 v45, v15, s0, -v44
	v_fma_f16 v44, v15, s0, v44
	v_add_f16_e32 v40, v40, v46
	v_fma_f16 v43, v33, s4, -v43
	v_mul_f16_e32 v46, 0xbbf1, v16
	v_add_f16_e32 v44, v44, v48
	v_mul_f16_e32 v48, 0x33a8, v26
	v_add_f16_e32 v43, v43, v47
	v_add_f16_e32 v45, v45, v49
	v_fma_f16 v47, v33, s0, v46
	v_fma_f16 v46, v33, s0, -v46
	v_fma_f16 v49, v15, s7, -v48
	v_fma_f16 v48, v15, s7, v48
	v_mul_f16_e32 v26, 0x3a95, v26
	v_add_f16_e32 v46, v46, v50
	v_mul_f16_e32 v50, 0x33a8, v16
	v_add_f16_e32 v48, v48, v52
	v_fma_f16 v52, v15, s1, -v26
	v_mul_f16_e32 v16, 0x3a95, v16
	v_fma_f16 v15, v15, s1, v26
	v_add_f16_e32 v49, v49, v53
	v_fma_f16 v53, v33, s1, v16
	v_add_f16_e32 v13, v15, v13
	v_fma_f16 v15, v33, s1, -v16
	v_add_f16_e32 v16, v22, v25
	v_sub_f16_e32 v22, v22, v25
	v_add_f16_e32 v14, v15, v14
	v_add_f16_e32 v15, v17, v31
	v_sub_f16_e32 v17, v17, v31
	v_mul_f16_e32 v25, 0xb94e, v22
	v_fma_f16 v26, v15, s6, -v25
	v_mul_f16_e32 v31, 0xb94e, v17
	v_fma_f16 v25, v15, s6, v25
	v_add_f16_e32 v25, v25, v27
	v_fma_f16 v27, v16, s6, -v31
	v_add_f16_e32 v27, v27, v28
	v_mul_f16_e32 v28, 0x3bf1, v22
	v_add_f16_e32 v47, v47, v51
	v_fma_f16 v51, v33, s7, v50
	v_fma_f16 v50, v33, s7, -v50
	v_add_f16_e32 v26, v26, v34
	v_fma_f16 v33, v16, s6, v31
	v_fma_f16 v31, v15, s0, -v28
	v_mul_f16_e32 v34, 0x3bf1, v17
	v_fma_f16 v28, v15, s0, v28
	v_add_f16_e32 v28, v28, v29
	v_fma_f16 v29, v16, s0, -v34
	v_add_f16_e32 v29, v29, v32
	v_mul_f16_e32 v32, 0xba95, v22
	v_add_f16_e32 v31, v31, v35
	v_fma_f16 v35, v16, s0, v34
	v_fma_f16 v34, v15, s1, -v32
	v_fma_f16 v32, v15, s1, v32
	v_add_f16_e32 v33, v33, v36
	v_mul_f16_e32 v36, 0xba95, v17
	v_add_f16_e32 v32, v32, v37
	v_mul_f16_e32 v37, 0x33a8, v22
	v_add_f16_e32 v35, v35, v39
	v_add_f16_e32 v34, v34, v40
	v_fma_f16 v39, v16, s1, v36
	v_fma_f16 v40, v15, s7, -v37
	v_fma_f16 v37, v15, s7, v37
	v_add_f16_e32 v39, v39, v42
	v_fma_f16 v36, v16, s1, -v36
	v_mul_f16_e32 v42, 0x33a8, v17
	v_add_f16_e32 v37, v37, v44
	v_mul_f16_e32 v44, 0x3770, v22
	v_add_f16_e32 v36, v36, v43
	v_add_f16_e32 v40, v40, v45
	v_fma_f16 v43, v16, s7, v42
	v_fma_f16 v42, v16, s7, -v42
	v_fma_f16 v45, v15, s4, -v44
	v_fma_f16 v44, v15, s4, v44
	v_mul_f16_e32 v22, 0xbb7b, v22
	v_add_f16_e32 v42, v42, v46
	v_mul_f16_e32 v46, 0x3770, v17
	v_add_f16_e32 v44, v44, v48
	v_fma_f16 v48, v15, s5, -v22
	v_mul_f16_e32 v17, 0xbb7b, v17
	v_fma_f16 v15, v15, s5, v22
	v_add_f16_e32 v13, v15, v13
	v_fma_f16 v15, v16, s5, -v17
	v_add_f16_e32 v45, v45, v49
	v_fma_f16 v49, v16, s5, v17
	v_add_f16_e32 v14, v15, v14
	v_add_f16_e32 v15, v18, v30
	v_sub_f16_e32 v17, v18, v30
	v_sub_f16_e32 v18, v23, v24
	v_mul_f16_e32 v22, 0xb3a8, v18
	v_add_f16_e32 v43, v43, v47
	v_fma_f16 v47, v16, s4, v46
	v_fma_f16 v46, v16, s4, -v46
	v_add_f16_e32 v16, v23, v24
	v_fma_f16 v23, v15, s7, -v22
	v_mul_f16_e32 v24, 0xb3a8, v17
	v_fma_f16 v22, v15, s7, v22
	v_add_f16_e32 v23, v23, v26
	v_fma_f16 v26, v16, s7, v24
	v_add_f16_e32 v22, v22, v25
	v_fma_f16 v24, v16, s7, -v24
	v_mul_f16_e32 v25, 0x3770, v18
	v_add_f16_e32 v24, v24, v27
	v_fma_f16 v27, v15, s4, -v25
	v_mul_f16_e32 v30, 0x3770, v17
	v_fma_f16 v25, v15, s4, v25
	v_add_f16_e32 v25, v25, v28
	v_fma_f16 v28, v16, s4, -v30
	v_add_f16_e32 v28, v28, v29
	v_mul_f16_e32 v29, 0xb94e, v18
	v_add_f16_e32 v26, v26, v33
	v_add_f16_e32 v27, v27, v31
	v_fma_f16 v31, v16, s4, v30
	v_fma_f16 v30, v15, s6, -v29
	v_mul_f16_e32 v33, 0xb94e, v17
	v_fma_f16 v29, v15, s6, v29
	v_add_f16_e32 v30, v30, v34
	v_fma_f16 v34, v16, s6, v33
	v_add_f16_e32 v29, v29, v32
	v_fma_f16 v32, v16, s6, -v33
	v_mul_f16_e32 v33, 0x3a95, v18
	v_add_f16_e32 v31, v31, v35
	v_fma_f16 v35, v15, s1, -v33
	v_fma_f16 v33, v15, s1, v33
	v_add_f16_e32 v32, v32, v36
	v_mul_f16_e32 v36, 0x3a95, v17
	v_add_f16_e32 v33, v33, v37
	v_mul_f16_e32 v37, 0xbb7b, v18
	v_add_f16_e32 v60, v64, v60
	v_add_f16_e32 v34, v34, v39
	;; [unrolled: 1-line block ×3, first 2 shown]
	v_fma_f16 v39, v16, s1, v36
	v_fma_f16 v36, v16, s1, -v36
	v_fma_f16 v40, v15, s5, -v37
	v_fma_f16 v37, v15, s5, v37
	v_mul_f16_e32 v18, 0x3bf1, v18
	v_add_f16_e32 v61, v61, v62
	v_add_f16_e32 v55, v55, v60
	v_add_f16_e32 v36, v36, v42
	v_mul_f16_e32 v42, 0xbb7b, v17
	v_add_f16_e32 v37, v37, v44
	v_fma_f16 v44, v15, s0, -v18
	v_mul_f16_e32 v17, 0x3bf1, v17
	v_fma_f16 v15, v15, s0, v18
	v_add_f16_e32 v56, v56, v58
	v_add_f16_e32 v57, v57, v61
	;; [unrolled: 1-line block ×4, first 2 shown]
	v_fma_f16 v15, v16, s0, -v17
	v_add_f16_e32 v54, v54, v59
	v_add_f16_e32 v52, v52, v56
	;; [unrolled: 1-line block ×6, first 2 shown]
	v_fma_f16 v43, v16, s5, v42
	v_fma_f16 v42, v16, s5, -v42
	v_fma_f16 v45, v16, s0, v17
	v_add_f16_e32 v14, v15, v14
	v_pack_b32_f16 v15, v38, v41
	v_pack_b32_f16 v16, v23, v26
	v_add_f16_e32 v50, v50, v54
	v_add_f16_e32 v48, v48, v52
	;; [unrolled: 1-line block ×4, first 2 shown]
	ds_write2_b32 v0, v15, v16 offset1:156
	v_pack_b32_f16 v15, v27, v31
	v_pack_b32_f16 v16, v30, v34
	v_add_u32_e32 v17, 0x400, v0
	v_add_f16_e32 v46, v46, v50
	v_add_f16_e32 v44, v44, v48
	;; [unrolled: 1-line block ×3, first 2 shown]
	ds_write2_b32 v17, v15, v16 offset0:56 offset1:212
	v_pack_b32_f16 v15, v35, v39
	v_pack_b32_f16 v16, v40, v43
	v_add_f16_e32 v42, v42, v46
	ds_write2_b32 v11, v15, v16 offset0:48 offset1:204
	v_pack_b32_f16 v11, v44, v45
	v_pack_b32_f16 v13, v13, v14
	ds_write2_b32 v12, v11, v13 offset0:40 offset1:196
	v_pack_b32_f16 v11, v37, v42
	v_pack_b32_f16 v12, v33, v36
	;; [unrolled: 3-line block ×3, first 2 shown]
	ds_write2_b32 v4, v8, v11 offset0:24 offset1:180
	v_pack_b32_f16 v4, v22, v24
	ds_write_b32 v0, v4 offset:7488
	s_waitcnt lgkmcnt(0)
	s_barrier
	ds_read_b32 v8, v0
	s_add_u32 s6, s12, 0x1f7c
	v_lshlrev_b32_e32 v4, 2, v3
	s_addc_u32 s7, s13, 0
	v_sub_u32_e32 v14, 0, v4
	v_cmp_ne_u32_e64 s[0:1], 0, v3
                                        ; implicit-def: $vgpr16
                                        ; implicit-def: $vgpr15
                                        ; implicit-def: $vgpr17
                                        ; implicit-def: $vgpr12_vgpr13
	s_and_saveexec_b64 s[4:5], s[0:1]
	s_xor_b64 s[4:5], exec, s[4:5]
	s_cbranch_execz .LBB0_23
; %bb.22:
	v_mov_b32_e32 v4, 0
	v_lshlrev_b64 v[11:12], 2, v[3:4]
	v_mov_b32_e32 v13, s7
	v_add_co_u32_e64 v11, s[0:1], s6, v11
	v_addc_co_u32_e64 v12, s[0:1], v13, v12, s[0:1]
	global_load_dword v11, v[11:12], off
	ds_read_b32 v12, v14 offset:8112
	s_waitcnt lgkmcnt(0)
	v_add_f16_sdwa v15, v12, v8 dst_sel:DWORD dst_unused:UNUSED_PAD src0_sel:WORD_1 src1_sel:WORD_1
	v_sub_f16_e32 v16, v8, v12
	v_add_f16_e32 v13, v12, v8
	v_sub_f16_sdwa v8, v8, v12 dst_sel:DWORD dst_unused:UNUSED_PAD src0_sel:WORD_1 src1_sel:WORD_1
	v_mul_f16_e32 v12, 0.5, v15
	v_mul_f16_e32 v15, 0.5, v16
	;; [unrolled: 1-line block ×3, first 2 shown]
	s_waitcnt vmcnt(0)
	v_lshrrev_b32_e32 v16, 16, v11
	v_mul_f16_e32 v18, v16, v15
	v_fma_f16 v17, v12, v16, v8
	v_fma_f16 v8, v12, v16, -v8
	v_fma_f16 v22, v13, 0.5, v18
	v_fma_f16 v13, v13, 0.5, -v18
	v_fma_f16 v17, -v11, v15, v17
	v_fma_f16 v16, -v11, v15, v8
	v_fma_f16 v8, v11, v12, v22
	v_fma_f16 v15, -v11, v12, v13
	v_mov_b32_e32 v13, v4
	ds_write_b16 v0, v8
	v_mov_b32_e32 v12, v3
                                        ; implicit-def: $vgpr8
.LBB0_23:
	s_andn2_saveexec_b64 s[0:1], s[4:5]
	s_cbranch_execz .LBB0_25
; %bb.24:
	v_mov_b32_e32 v17, 0
	ds_read_u16 v4, v17 offset:4058
	v_mov_b32_e32 v12, 0
	s_waitcnt lgkmcnt(1)
	v_add_f16_sdwa v11, v8, v8 dst_sel:DWORD dst_unused:UNUSED_PAD src0_sel:WORD_1 src1_sel:DWORD
	v_sub_f16_sdwa v15, v8, v8 dst_sel:DWORD dst_unused:UNUSED_PAD src0_sel:DWORD src1_sel:WORD_1
	v_mov_b32_e32 v13, 0
	s_waitcnt lgkmcnt(0)
	v_xor_b32_e32 v4, 0x8000, v4
	v_mov_b32_e32 v16, 0
	ds_write_b16 v0, v11
	ds_write_b16 v17, v4 offset:4058
.LBB0_25:
	s_or_b64 exec, exec, s[0:1]
	s_waitcnt lgkmcnt(0)
	v_mov_b32_e32 v8, 0
	v_lshlrev_b64 v[22:23], 2, v[7:8]
	v_mov_b32_e32 v4, s7
	v_add_co_u32_e64 v22, s[0:1], s6, v22
	v_addc_co_u32_e64 v23, s[0:1], v4, v23, s[0:1]
	global_load_dword v4, v[22:23], off
	v_mov_b32_e32 v11, v8
	v_lshlrev_b64 v[10:11], 2, v[10:11]
	v_mov_b32_e32 v7, s7
	v_add_co_u32_e64 v10, s[0:1], s6, v10
	v_addc_co_u32_e64 v11, s[0:1], v7, v11, s[0:1]
	global_load_dword v11, v[10:11], off
	;; [unrolled: 6-line block ×3, first 2 shown]
	v_lshlrev_b64 v[7:8], 2, v[12:13]
	s_mov_b32 s0, 0x5040100
	v_mov_b32_e32 v10, s7
	v_perm_b32 v12, v16, v15, s0
	v_add_co_u32_e64 v7, s[0:1], s6, v7
	ds_write_b16 v0, v17 offset:2
	ds_write_b32 v14, v12 offset:8112
	v_addc_co_u32_e64 v8, s[0:1], v10, v8, s[0:1]
	ds_read_b32 v12, v21
	ds_read_b32 v13, v14 offset:7488
	global_load_dword v10, v[7:8], off offset:2496
	global_load_dword v15, v[7:8], off offset:3120
	s_mov_b32 s8, 0xffff
	s_movk_i32 s0, 0x4e
	v_cmp_gt_u32_e64 s[0:1], s0, v3
	s_waitcnt lgkmcnt(0)
	v_pk_add_f16 v16, v12, v13 neg_lo:[0,1] neg_hi:[0,1]
	v_pk_add_f16 v12, v12, v13
	v_bfi_b32 v13, s8, v16, v12
	v_bfi_b32 v12, s8, v12, v16
	v_pk_mul_f16 v13, v13, 0.5 op_sel_hi:[1,0]
	v_pk_mul_f16 v12, v12, 0.5 op_sel_hi:[1,0]
	s_waitcnt vmcnt(4)
	v_pk_fma_f16 v16, v4, v13, v12 op_sel:[1,0,0]
	v_pk_mul_f16 v17, v4, v13 op_sel_hi:[0,1]
	v_pk_fma_f16 v18, v4, v13, v12 op_sel:[1,0,0] neg_lo:[1,0,0] neg_hi:[1,0,0]
	v_pk_fma_f16 v4, v4, v13, v12 op_sel:[1,0,0] neg_lo:[0,0,1] neg_hi:[0,0,1]
	v_pk_add_f16 v12, v16, v17 op_sel:[0,1] op_sel_hi:[1,0]
	v_pk_add_f16 v13, v16, v17 op_sel:[0,1] op_sel_hi:[1,0] neg_lo:[0,1] neg_hi:[0,1]
	v_pk_add_f16 v16, v18, v17 op_sel:[0,1] op_sel_hi:[1,0] neg_lo:[0,1] neg_hi:[0,1]
	;; [unrolled: 1-line block ×3, first 2 shown]
	v_bfi_b32 v12, s8, v12, v13
	v_bfi_b32 v4, s8, v16, v4
	ds_write_b32 v21, v12
	ds_write_b32 v14, v4 offset:7488
	ds_read_b32 v4, v20
	ds_read_b32 v12, v14 offset:6864
	s_waitcnt lgkmcnt(0)
	v_pk_add_f16 v13, v4, v12 neg_lo:[0,1] neg_hi:[0,1]
	v_pk_add_f16 v4, v4, v12
	v_bfi_b32 v12, s8, v13, v4
	v_bfi_b32 v4, s8, v4, v13
	v_pk_mul_f16 v12, v12, 0.5 op_sel_hi:[1,0]
	v_pk_mul_f16 v4, v4, 0.5 op_sel_hi:[1,0]
	s_waitcnt vmcnt(3)
	v_pk_fma_f16 v13, v11, v12, v4 op_sel:[1,0,0]
	v_pk_mul_f16 v16, v11, v12 op_sel_hi:[0,1]
	v_pk_fma_f16 v17, v11, v12, v4 op_sel:[1,0,0] neg_lo:[1,0,0] neg_hi:[1,0,0]
	v_pk_fma_f16 v4, v11, v12, v4 op_sel:[1,0,0] neg_lo:[0,0,1] neg_hi:[0,0,1]
	v_pk_add_f16 v11, v13, v16 op_sel:[0,1] op_sel_hi:[1,0]
	v_pk_add_f16 v12, v13, v16 op_sel:[0,1] op_sel_hi:[1,0] neg_lo:[0,1] neg_hi:[0,1]
	v_pk_add_f16 v13, v17, v16 op_sel:[0,1] op_sel_hi:[1,0] neg_lo:[0,1] neg_hi:[0,1]
	;; [unrolled: 1-line block ×3, first 2 shown]
	v_bfi_b32 v11, s8, v11, v12
	v_bfi_b32 v4, s8, v13, v4
	ds_write_b32 v20, v11
	ds_write_b32 v14, v4 offset:6864
	ds_read_b32 v4, v19
	ds_read_b32 v11, v14 offset:6240
	s_waitcnt lgkmcnt(0)
	v_pk_add_f16 v12, v4, v11 neg_lo:[0,1] neg_hi:[0,1]
	v_pk_add_f16 v4, v4, v11
	v_bfi_b32 v11, s8, v12, v4
	v_bfi_b32 v4, s8, v4, v12
	v_pk_mul_f16 v11, v11, 0.5 op_sel_hi:[1,0]
	v_pk_mul_f16 v4, v4, 0.5 op_sel_hi:[1,0]
	s_waitcnt vmcnt(2)
	v_pk_fma_f16 v12, v9, v11, v4 op_sel:[1,0,0]
	v_pk_mul_f16 v13, v9, v11 op_sel_hi:[0,1]
	v_pk_fma_f16 v16, v9, v11, v4 op_sel:[1,0,0] neg_lo:[1,0,0] neg_hi:[1,0,0]
	v_pk_fma_f16 v4, v9, v11, v4 op_sel:[1,0,0] neg_lo:[0,0,1] neg_hi:[0,0,1]
	v_pk_add_f16 v9, v12, v13 op_sel:[0,1] op_sel_hi:[1,0]
	v_pk_add_f16 v11, v12, v13 op_sel:[0,1] op_sel_hi:[1,0] neg_lo:[0,1] neg_hi:[0,1]
	v_pk_add_f16 v12, v16, v13 op_sel:[0,1] op_sel_hi:[1,0] neg_lo:[0,1] neg_hi:[0,1]
	;; [unrolled: 1-line block ×3, first 2 shown]
	v_bfi_b32 v9, s8, v9, v11
	v_bfi_b32 v4, s8, v12, v4
	ds_write_b32 v19, v9
	ds_write_b32 v14, v4 offset:6240
	ds_read_b32 v4, v0 offset:2496
	ds_read_b32 v9, v14 offset:5616
	s_waitcnt lgkmcnt(0)
	v_pk_add_f16 v11, v4, v9 neg_lo:[0,1] neg_hi:[0,1]
	v_pk_add_f16 v4, v4, v9
	v_bfi_b32 v9, s8, v11, v4
	v_bfi_b32 v4, s8, v4, v11
	v_pk_mul_f16 v9, v9, 0.5 op_sel_hi:[1,0]
	v_pk_mul_f16 v4, v4, 0.5 op_sel_hi:[1,0]
	s_waitcnt vmcnt(1)
	v_pk_fma_f16 v11, v10, v9, v4 op_sel:[1,0,0]
	v_pk_mul_f16 v12, v10, v9 op_sel_hi:[0,1]
	v_pk_fma_f16 v13, v10, v9, v4 op_sel:[1,0,0] neg_lo:[1,0,0] neg_hi:[1,0,0]
	v_pk_fma_f16 v4, v10, v9, v4 op_sel:[1,0,0] neg_lo:[0,0,1] neg_hi:[0,0,1]
	v_pk_add_f16 v9, v11, v12 op_sel:[0,1] op_sel_hi:[1,0]
	v_pk_add_f16 v10, v11, v12 op_sel:[0,1] op_sel_hi:[1,0] neg_lo:[0,1] neg_hi:[0,1]
	v_pk_add_f16 v11, v13, v12 op_sel:[0,1] op_sel_hi:[1,0] neg_lo:[0,1] neg_hi:[0,1]
	;; [unrolled: 1-line block ×3, first 2 shown]
	v_bfi_b32 v9, s8, v9, v10
	v_bfi_b32 v4, s8, v11, v4
	ds_write_b32 v0, v9 offset:2496
	ds_write_b32 v14, v4 offset:5616
	ds_read_b32 v4, v0 offset:3120
	ds_read_b32 v9, v14 offset:4992
	s_waitcnt lgkmcnt(0)
	v_pk_add_f16 v10, v4, v9 neg_lo:[0,1] neg_hi:[0,1]
	v_pk_add_f16 v4, v4, v9
	v_bfi_b32 v9, s8, v10, v4
	v_bfi_b32 v4, s8, v4, v10
	v_pk_mul_f16 v9, v9, 0.5 op_sel_hi:[1,0]
	v_pk_mul_f16 v4, v4, 0.5 op_sel_hi:[1,0]
	s_waitcnt vmcnt(0)
	v_pk_fma_f16 v10, v15, v9, v4 op_sel:[1,0,0]
	v_pk_mul_f16 v11, v15, v9 op_sel_hi:[0,1]
	v_pk_fma_f16 v12, v15, v9, v4 op_sel:[1,0,0] neg_lo:[1,0,0] neg_hi:[1,0,0]
	v_pk_fma_f16 v4, v15, v9, v4 op_sel:[1,0,0] neg_lo:[0,0,1] neg_hi:[0,0,1]
	v_pk_add_f16 v9, v10, v11 op_sel:[0,1] op_sel_hi:[1,0]
	v_pk_add_f16 v10, v10, v11 op_sel:[0,1] op_sel_hi:[1,0] neg_lo:[0,1] neg_hi:[0,1]
	v_pk_add_f16 v12, v12, v11 op_sel:[0,1] op_sel_hi:[1,0] neg_lo:[0,1] neg_hi:[0,1]
	;; [unrolled: 1-line block ×3, first 2 shown]
	v_bfi_b32 v9, s8, v9, v10
	v_bfi_b32 v4, s8, v12, v4
	ds_write_b32 v0, v9 offset:3120
	ds_write_b32 v14, v4 offset:4992
	s_and_saveexec_b64 s[4:5], s[0:1]
	s_cbranch_execz .LBB0_27
; %bb.26:
	global_load_dword v4, v[7:8], off offset:3744
	ds_read_b32 v7, v0 offset:3744
	ds_read_b32 v8, v14 offset:4368
	s_waitcnt lgkmcnt(0)
	v_pk_add_f16 v9, v7, v8 neg_lo:[0,1] neg_hi:[0,1]
	v_pk_add_f16 v7, v7, v8
	v_bfi_b32 v8, s8, v9, v7
	v_bfi_b32 v7, s8, v7, v9
	v_pk_mul_f16 v8, v8, 0.5 op_sel_hi:[1,0]
	v_pk_mul_f16 v7, v7, 0.5 op_sel_hi:[1,0]
	s_waitcnt vmcnt(0)
	v_pk_fma_f16 v9, v4, v8, v7 op_sel:[1,0,0]
	v_pk_mul_f16 v10, v4, v8 op_sel_hi:[0,1]
	v_pk_fma_f16 v11, v4, v8, v7 op_sel:[1,0,0] neg_lo:[1,0,0] neg_hi:[1,0,0]
	v_pk_fma_f16 v4, v4, v8, v7 op_sel:[1,0,0] neg_lo:[0,0,1] neg_hi:[0,0,1]
	v_pk_add_f16 v7, v9, v10 op_sel:[0,1] op_sel_hi:[1,0]
	v_pk_add_f16 v8, v9, v10 op_sel:[0,1] op_sel_hi:[1,0] neg_lo:[0,1] neg_hi:[0,1]
	v_pk_add_f16 v9, v11, v10 op_sel:[0,1] op_sel_hi:[1,0] neg_lo:[0,1] neg_hi:[0,1]
	;; [unrolled: 1-line block ×3, first 2 shown]
	v_bfi_b32 v7, s8, v7, v8
	v_bfi_b32 v4, s8, v9, v4
	ds_write_b32 v0, v7 offset:3744
	ds_write_b32 v14, v4 offset:4368
.LBB0_27:
	s_or_b64 exec, exec, s[4:5]
	s_waitcnt lgkmcnt(0)
	s_barrier
	s_and_saveexec_b64 s[0:1], vcc
	s_cbranch_execz .LBB0_30
; %bb.28:
	v_mul_lo_u32 v0, s3, v5
	v_mul_lo_u32 v4, s2, v6
	v_mad_u64_u32 v[5:6], s[0:1], s2, v5, 0
	v_lshl_add_u32 v9, v3, 2, 0
	v_lshlrev_b64 v[1:2], 2, v[1:2]
	v_add3_u32 v6, v6, v4, v0
	v_lshlrev_b64 v[5:6], 2, v[5:6]
	v_mov_b32_e32 v0, s11
	v_add_co_u32_e32 v5, vcc, s10, v5
	v_mov_b32_e32 v4, 0
	ds_read2_b32 v[7:8], v9 offset1:156
	v_addc_co_u32_e32 v0, vcc, v0, v6, vcc
	v_add_co_u32_e32 v1, vcc, v5, v1
	v_lshlrev_b64 v[5:6], 2, v[3:4]
	v_addc_co_u32_e32 v0, vcc, v0, v2, vcc
	v_add_co_u32_e32 v5, vcc, v1, v5
	v_addc_co_u32_e32 v6, vcc, v0, v6, vcc
	s_waitcnt lgkmcnt(0)
	global_store_dword v[5:6], v7, off
	v_add_u32_e32 v5, 0x9c, v3
	v_mov_b32_e32 v6, v4
	v_lshlrev_b64 v[5:6], 2, v[5:6]
	v_add_u32_e32 v2, 0x400, v9
	v_add_co_u32_e32 v5, vcc, v1, v5
	v_addc_co_u32_e32 v6, vcc, v0, v6, vcc
	global_store_dword v[5:6], v8, off
	v_add_u32_e32 v5, 0x138, v3
	v_mov_b32_e32 v6, v4
	ds_read2_b32 v[7:8], v2 offset0:56 offset1:212
	v_lshlrev_b64 v[5:6], 2, v[5:6]
	v_add_u32_e32 v2, 0x900, v9
	v_add_co_u32_e32 v5, vcc, v1, v5
	v_addc_co_u32_e32 v6, vcc, v0, v6, vcc
	s_waitcnt lgkmcnt(0)
	global_store_dword v[5:6], v7, off
	v_add_u32_e32 v5, 0x1d4, v3
	v_mov_b32_e32 v6, v4
	v_lshlrev_b64 v[5:6], 2, v[5:6]
	s_movk_i32 s0, 0x9b
	v_add_co_u32_e32 v5, vcc, v1, v5
	v_addc_co_u32_e32 v6, vcc, v0, v6, vcc
	global_store_dword v[5:6], v8, off
	v_add_u32_e32 v5, 0x270, v3
	v_mov_b32_e32 v6, v4
	ds_read2_b32 v[7:8], v2 offset0:48 offset1:204
	v_lshlrev_b64 v[5:6], 2, v[5:6]
	v_add_u32_e32 v2, 0xe00, v9
	v_add_co_u32_e32 v5, vcc, v1, v5
	v_addc_co_u32_e32 v6, vcc, v0, v6, vcc
	s_waitcnt lgkmcnt(0)
	global_store_dword v[5:6], v7, off
	v_add_u32_e32 v5, 0x30c, v3
	v_mov_b32_e32 v6, v4
	v_lshlrev_b64 v[5:6], 2, v[5:6]
	v_add_co_u32_e32 v5, vcc, v1, v5
	v_addc_co_u32_e32 v6, vcc, v0, v6, vcc
	global_store_dword v[5:6], v8, off
	v_add_u32_e32 v5, 0x3a8, v3
	v_mov_b32_e32 v6, v4
	ds_read2_b32 v[7:8], v2 offset0:40 offset1:196
	v_lshlrev_b64 v[5:6], 2, v[5:6]
	v_add_u32_e32 v2, 0x1200, v9
	v_add_co_u32_e32 v5, vcc, v1, v5
	v_addc_co_u32_e32 v6, vcc, v0, v6, vcc
	s_waitcnt lgkmcnt(0)
	global_store_dword v[5:6], v7, off
	v_add_u32_e32 v5, 0x444, v3
	v_mov_b32_e32 v6, v4
	v_lshlrev_b64 v[5:6], 2, v[5:6]
	;; [unrolled: 15-line block ×3, first 2 shown]
	v_add_co_u32_e32 v5, vcc, v1, v5
	v_addc_co_u32_e32 v6, vcc, v0, v6, vcc
	global_store_dword v[5:6], v8, off
	v_add_u32_e32 v5, 0x618, v3
	v_mov_b32_e32 v6, v4
	ds_read2_b32 v[7:8], v2 offset0:24 offset1:180
	v_lshlrev_b64 v[5:6], 2, v[5:6]
	ds_read_b32 v2, v9 offset:7488
	v_add_co_u32_e32 v5, vcc, v1, v5
	v_addc_co_u32_e32 v6, vcc, v0, v6, vcc
	s_waitcnt lgkmcnt(1)
	global_store_dword v[5:6], v7, off
	v_add_u32_e32 v5, 0x6b4, v3
	v_mov_b32_e32 v6, v4
	v_lshlrev_b64 v[5:6], 2, v[5:6]
	v_add_co_u32_e32 v5, vcc, v1, v5
	v_addc_co_u32_e32 v6, vcc, v0, v6, vcc
	global_store_dword v[5:6], v8, off
	v_add_u32_e32 v5, 0x750, v3
	v_mov_b32_e32 v6, v4
	v_lshlrev_b64 v[5:6], 2, v[5:6]
	v_add_co_u32_e32 v5, vcc, v1, v5
	v_addc_co_u32_e32 v6, vcc, v0, v6, vcc
	v_cmp_eq_u32_e32 vcc, s0, v3
	s_waitcnt lgkmcnt(0)
	global_store_dword v[5:6], v2, off
	s_and_b64 exec, exec, vcc
	s_cbranch_execz .LBB0_30
; %bb.29:
	ds_read_b32 v3, v4 offset:8112
	v_add_co_u32_e32 v1, vcc, 0x1000, v1
	v_addc_co_u32_e32 v2, vcc, 0, v0, vcc
	s_waitcnt lgkmcnt(0)
	global_store_dword v[1:2], v3, off offset:4016
.LBB0_30:
	s_endpgm
	.section	.rodata,"a",@progbits
	.p2align	6, 0x0
	.amdhsa_kernel fft_rtc_fwd_len2028_factors_13_4_3_13_wgs_156_tpt_156_half_op_CI_CI_unitstride_sbrr_R2C_dirReg
		.amdhsa_group_segment_fixed_size 0
		.amdhsa_private_segment_fixed_size 0
		.amdhsa_kernarg_size 104
		.amdhsa_user_sgpr_count 6
		.amdhsa_user_sgpr_private_segment_buffer 1
		.amdhsa_user_sgpr_dispatch_ptr 0
		.amdhsa_user_sgpr_queue_ptr 0
		.amdhsa_user_sgpr_kernarg_segment_ptr 1
		.amdhsa_user_sgpr_dispatch_id 0
		.amdhsa_user_sgpr_flat_scratch_init 0
		.amdhsa_user_sgpr_private_segment_size 0
		.amdhsa_uses_dynamic_stack 0
		.amdhsa_system_sgpr_private_segment_wavefront_offset 0
		.amdhsa_system_sgpr_workgroup_id_x 1
		.amdhsa_system_sgpr_workgroup_id_y 0
		.amdhsa_system_sgpr_workgroup_id_z 0
		.amdhsa_system_sgpr_workgroup_info 0
		.amdhsa_system_vgpr_workitem_id 0
		.amdhsa_next_free_vgpr 77
		.amdhsa_next_free_sgpr 28
		.amdhsa_reserve_vcc 1
		.amdhsa_reserve_flat_scratch 0
		.amdhsa_float_round_mode_32 0
		.amdhsa_float_round_mode_16_64 0
		.amdhsa_float_denorm_mode_32 3
		.amdhsa_float_denorm_mode_16_64 3
		.amdhsa_dx10_clamp 1
		.amdhsa_ieee_mode 1
		.amdhsa_fp16_overflow 0
		.amdhsa_exception_fp_ieee_invalid_op 0
		.amdhsa_exception_fp_denorm_src 0
		.amdhsa_exception_fp_ieee_div_zero 0
		.amdhsa_exception_fp_ieee_overflow 0
		.amdhsa_exception_fp_ieee_underflow 0
		.amdhsa_exception_fp_ieee_inexact 0
		.amdhsa_exception_int_div_zero 0
	.end_amdhsa_kernel
	.text
.Lfunc_end0:
	.size	fft_rtc_fwd_len2028_factors_13_4_3_13_wgs_156_tpt_156_half_op_CI_CI_unitstride_sbrr_R2C_dirReg, .Lfunc_end0-fft_rtc_fwd_len2028_factors_13_4_3_13_wgs_156_tpt_156_half_op_CI_CI_unitstride_sbrr_R2C_dirReg
                                        ; -- End function
	.section	.AMDGPU.csdata,"",@progbits
; Kernel info:
; codeLenInByte = 13172
; NumSgprs: 32
; NumVgprs: 77
; ScratchSize: 0
; MemoryBound: 0
; FloatMode: 240
; IeeeMode: 1
; LDSByteSize: 0 bytes/workgroup (compile time only)
; SGPRBlocks: 3
; VGPRBlocks: 19
; NumSGPRsForWavesPerEU: 32
; NumVGPRsForWavesPerEU: 77
; Occupancy: 3
; WaveLimiterHint : 1
; COMPUTE_PGM_RSRC2:SCRATCH_EN: 0
; COMPUTE_PGM_RSRC2:USER_SGPR: 6
; COMPUTE_PGM_RSRC2:TRAP_HANDLER: 0
; COMPUTE_PGM_RSRC2:TGID_X_EN: 1
; COMPUTE_PGM_RSRC2:TGID_Y_EN: 0
; COMPUTE_PGM_RSRC2:TGID_Z_EN: 0
; COMPUTE_PGM_RSRC2:TIDIG_COMP_CNT: 0
	.type	__hip_cuid_bdcd2648fbcf7ee2,@object ; @__hip_cuid_bdcd2648fbcf7ee2
	.section	.bss,"aw",@nobits
	.globl	__hip_cuid_bdcd2648fbcf7ee2
__hip_cuid_bdcd2648fbcf7ee2:
	.byte	0                               ; 0x0
	.size	__hip_cuid_bdcd2648fbcf7ee2, 1

	.ident	"AMD clang version 19.0.0git (https://github.com/RadeonOpenCompute/llvm-project roc-6.4.0 25133 c7fe45cf4b819c5991fe208aaa96edf142730f1d)"
	.section	".note.GNU-stack","",@progbits
	.addrsig
	.addrsig_sym __hip_cuid_bdcd2648fbcf7ee2
	.amdgpu_metadata
---
amdhsa.kernels:
  - .args:
      - .actual_access:  read_only
        .address_space:  global
        .offset:         0
        .size:           8
        .value_kind:     global_buffer
      - .offset:         8
        .size:           8
        .value_kind:     by_value
      - .actual_access:  read_only
        .address_space:  global
        .offset:         16
        .size:           8
        .value_kind:     global_buffer
      - .actual_access:  read_only
        .address_space:  global
        .offset:         24
        .size:           8
        .value_kind:     global_buffer
      - .actual_access:  read_only
        .address_space:  global
        .offset:         32
        .size:           8
        .value_kind:     global_buffer
      - .offset:         40
        .size:           8
        .value_kind:     by_value
      - .actual_access:  read_only
        .address_space:  global
        .offset:         48
        .size:           8
        .value_kind:     global_buffer
      - .actual_access:  read_only
        .address_space:  global
        .offset:         56
        .size:           8
        .value_kind:     global_buffer
      - .offset:         64
        .size:           4
        .value_kind:     by_value
      - .actual_access:  read_only
        .address_space:  global
        .offset:         72
        .size:           8
        .value_kind:     global_buffer
      - .actual_access:  read_only
        .address_space:  global
        .offset:         80
        .size:           8
        .value_kind:     global_buffer
      - .actual_access:  read_only
        .address_space:  global
        .offset:         88
        .size:           8
        .value_kind:     global_buffer
      - .actual_access:  write_only
        .address_space:  global
        .offset:         96
        .size:           8
        .value_kind:     global_buffer
    .group_segment_fixed_size: 0
    .kernarg_segment_align: 8
    .kernarg_segment_size: 104
    .language:       OpenCL C
    .language_version:
      - 2
      - 0
    .max_flat_workgroup_size: 156
    .name:           fft_rtc_fwd_len2028_factors_13_4_3_13_wgs_156_tpt_156_half_op_CI_CI_unitstride_sbrr_R2C_dirReg
    .private_segment_fixed_size: 0
    .sgpr_count:     32
    .sgpr_spill_count: 0
    .symbol:         fft_rtc_fwd_len2028_factors_13_4_3_13_wgs_156_tpt_156_half_op_CI_CI_unitstride_sbrr_R2C_dirReg.kd
    .uniform_work_group_size: 1
    .uses_dynamic_stack: false
    .vgpr_count:     77
    .vgpr_spill_count: 0
    .wavefront_size: 64
amdhsa.target:   amdgcn-amd-amdhsa--gfx906
amdhsa.version:
  - 1
  - 2
...

	.end_amdgpu_metadata
